;; amdgpu-corpus repo=ROCm/rocFFT kind=compiled arch=gfx1100 opt=O3
	.text
	.amdgcn_target "amdgcn-amd-amdhsa--gfx1100"
	.amdhsa_code_object_version 6
	.protected	fft_rtc_fwd_len2430_factors_10_3_3_3_3_3_wgs_81_tpt_81_halfLds_dp_ip_CI_unitstride_sbrr_R2C_dirReg ; -- Begin function fft_rtc_fwd_len2430_factors_10_3_3_3_3_3_wgs_81_tpt_81_halfLds_dp_ip_CI_unitstride_sbrr_R2C_dirReg
	.globl	fft_rtc_fwd_len2430_factors_10_3_3_3_3_3_wgs_81_tpt_81_halfLds_dp_ip_CI_unitstride_sbrr_R2C_dirReg
	.p2align	8
	.type	fft_rtc_fwd_len2430_factors_10_3_3_3_3_3_wgs_81_tpt_81_halfLds_dp_ip_CI_unitstride_sbrr_R2C_dirReg,@function
fft_rtc_fwd_len2430_factors_10_3_3_3_3_3_wgs_81_tpt_81_halfLds_dp_ip_CI_unitstride_sbrr_R2C_dirReg: ; @fft_rtc_fwd_len2430_factors_10_3_3_3_3_3_wgs_81_tpt_81_halfLds_dp_ip_CI_unitstride_sbrr_R2C_dirReg
; %bb.0:
	s_clause 0x2
	s_load_b128 s[4:7], s[0:1], 0x0
	s_load_b64 s[8:9], s[0:1], 0x50
	s_load_b64 s[10:11], s[0:1], 0x18
	v_mul_u32_u24_e32 v1, 0x32a, v0
	v_mov_b32_e32 v3, 0
	v_mov_b32_e32 v4, 0
	s_delay_alu instid0(VALU_DEP_3) | instskip(SKIP_1) | instid1(VALU_DEP_1)
	v_lshrrev_b32_e32 v2, 16, v1
	v_mov_b32_e32 v1, 0
	v_dual_mov_b32 v6, v1 :: v_dual_add_nc_u32 v5, s15, v2
	s_waitcnt lgkmcnt(0)
	v_cmp_lt_u64_e64 s2, s[6:7], 2
	s_delay_alu instid0(VALU_DEP_1)
	s_and_b32 vcc_lo, exec_lo, s2
	s_cbranch_vccnz .LBB0_8
; %bb.1:
	s_load_b64 s[2:3], s[0:1], 0x10
	v_mov_b32_e32 v3, 0
	s_add_u32 s12, s10, 8
	v_mov_b32_e32 v4, 0
	s_addc_u32 s13, s11, 0
	s_mov_b64 s[16:17], 1
	s_waitcnt lgkmcnt(0)
	s_add_u32 s14, s2, 8
	s_addc_u32 s15, s3, 0
.LBB0_2:                                ; =>This Inner Loop Header: Depth=1
	s_load_b64 s[18:19], s[14:15], 0x0
                                        ; implicit-def: $vgpr7_vgpr8
	s_mov_b32 s2, exec_lo
	s_waitcnt lgkmcnt(0)
	v_or_b32_e32 v2, s19, v6
	s_delay_alu instid0(VALU_DEP_1)
	v_cmpx_ne_u64_e32 0, v[1:2]
	s_xor_b32 s3, exec_lo, s2
	s_cbranch_execz .LBB0_4
; %bb.3:                                ;   in Loop: Header=BB0_2 Depth=1
	v_cvt_f32_u32_e32 v2, s18
	v_cvt_f32_u32_e32 v7, s19
	s_sub_u32 s2, 0, s18
	s_subb_u32 s20, 0, s19
	s_delay_alu instid0(VALU_DEP_1) | instskip(NEXT) | instid1(VALU_DEP_1)
	v_fmac_f32_e32 v2, 0x4f800000, v7
	v_rcp_f32_e32 v2, v2
	s_waitcnt_depctr 0xfff
	v_mul_f32_e32 v2, 0x5f7ffffc, v2
	s_delay_alu instid0(VALU_DEP_1) | instskip(NEXT) | instid1(VALU_DEP_1)
	v_mul_f32_e32 v7, 0x2f800000, v2
	v_trunc_f32_e32 v7, v7
	s_delay_alu instid0(VALU_DEP_1) | instskip(SKIP_1) | instid1(VALU_DEP_2)
	v_fmac_f32_e32 v2, 0xcf800000, v7
	v_cvt_u32_f32_e32 v7, v7
	v_cvt_u32_f32_e32 v2, v2
	s_delay_alu instid0(VALU_DEP_2) | instskip(NEXT) | instid1(VALU_DEP_2)
	v_mul_lo_u32 v8, s2, v7
	v_mul_hi_u32 v9, s2, v2
	v_mul_lo_u32 v10, s20, v2
	s_delay_alu instid0(VALU_DEP_2) | instskip(SKIP_1) | instid1(VALU_DEP_2)
	v_add_nc_u32_e32 v8, v9, v8
	v_mul_lo_u32 v9, s2, v2
	v_add_nc_u32_e32 v8, v8, v10
	s_delay_alu instid0(VALU_DEP_2) | instskip(NEXT) | instid1(VALU_DEP_2)
	v_mul_hi_u32 v10, v2, v9
	v_mul_lo_u32 v11, v2, v8
	v_mul_hi_u32 v12, v2, v8
	v_mul_hi_u32 v13, v7, v9
	v_mul_lo_u32 v9, v7, v9
	v_mul_hi_u32 v14, v7, v8
	v_mul_lo_u32 v8, v7, v8
	v_add_co_u32 v10, vcc_lo, v10, v11
	v_add_co_ci_u32_e32 v11, vcc_lo, 0, v12, vcc_lo
	s_delay_alu instid0(VALU_DEP_2) | instskip(NEXT) | instid1(VALU_DEP_2)
	v_add_co_u32 v9, vcc_lo, v10, v9
	v_add_co_ci_u32_e32 v9, vcc_lo, v11, v13, vcc_lo
	v_add_co_ci_u32_e32 v10, vcc_lo, 0, v14, vcc_lo
	s_delay_alu instid0(VALU_DEP_2) | instskip(NEXT) | instid1(VALU_DEP_2)
	v_add_co_u32 v8, vcc_lo, v9, v8
	v_add_co_ci_u32_e32 v9, vcc_lo, 0, v10, vcc_lo
	s_delay_alu instid0(VALU_DEP_2) | instskip(NEXT) | instid1(VALU_DEP_2)
	v_add_co_u32 v2, vcc_lo, v2, v8
	v_add_co_ci_u32_e32 v7, vcc_lo, v7, v9, vcc_lo
	s_delay_alu instid0(VALU_DEP_2) | instskip(SKIP_1) | instid1(VALU_DEP_3)
	v_mul_hi_u32 v8, s2, v2
	v_mul_lo_u32 v10, s20, v2
	v_mul_lo_u32 v9, s2, v7
	s_delay_alu instid0(VALU_DEP_1) | instskip(SKIP_1) | instid1(VALU_DEP_2)
	v_add_nc_u32_e32 v8, v8, v9
	v_mul_lo_u32 v9, s2, v2
	v_add_nc_u32_e32 v8, v8, v10
	s_delay_alu instid0(VALU_DEP_2) | instskip(NEXT) | instid1(VALU_DEP_2)
	v_mul_hi_u32 v10, v2, v9
	v_mul_lo_u32 v11, v2, v8
	v_mul_hi_u32 v12, v2, v8
	v_mul_hi_u32 v13, v7, v9
	v_mul_lo_u32 v9, v7, v9
	v_mul_hi_u32 v14, v7, v8
	v_mul_lo_u32 v8, v7, v8
	v_add_co_u32 v10, vcc_lo, v10, v11
	v_add_co_ci_u32_e32 v11, vcc_lo, 0, v12, vcc_lo
	s_delay_alu instid0(VALU_DEP_2) | instskip(NEXT) | instid1(VALU_DEP_2)
	v_add_co_u32 v9, vcc_lo, v10, v9
	v_add_co_ci_u32_e32 v9, vcc_lo, v11, v13, vcc_lo
	v_add_co_ci_u32_e32 v10, vcc_lo, 0, v14, vcc_lo
	s_delay_alu instid0(VALU_DEP_2) | instskip(NEXT) | instid1(VALU_DEP_2)
	v_add_co_u32 v8, vcc_lo, v9, v8
	v_add_co_ci_u32_e32 v9, vcc_lo, 0, v10, vcc_lo
	s_delay_alu instid0(VALU_DEP_2) | instskip(NEXT) | instid1(VALU_DEP_2)
	v_add_co_u32 v2, vcc_lo, v2, v8
	v_add_co_ci_u32_e32 v13, vcc_lo, v7, v9, vcc_lo
	s_delay_alu instid0(VALU_DEP_2) | instskip(SKIP_1) | instid1(VALU_DEP_3)
	v_mul_hi_u32 v14, v5, v2
	v_mad_u64_u32 v[9:10], null, v6, v2, 0
	v_mad_u64_u32 v[7:8], null, v5, v13, 0
	;; [unrolled: 1-line block ×3, first 2 shown]
	s_delay_alu instid0(VALU_DEP_2) | instskip(NEXT) | instid1(VALU_DEP_3)
	v_add_co_u32 v2, vcc_lo, v14, v7
	v_add_co_ci_u32_e32 v7, vcc_lo, 0, v8, vcc_lo
	s_delay_alu instid0(VALU_DEP_2) | instskip(NEXT) | instid1(VALU_DEP_2)
	v_add_co_u32 v2, vcc_lo, v2, v9
	v_add_co_ci_u32_e32 v2, vcc_lo, v7, v10, vcc_lo
	v_add_co_ci_u32_e32 v7, vcc_lo, 0, v12, vcc_lo
	s_delay_alu instid0(VALU_DEP_2) | instskip(NEXT) | instid1(VALU_DEP_2)
	v_add_co_u32 v2, vcc_lo, v2, v11
	v_add_co_ci_u32_e32 v9, vcc_lo, 0, v7, vcc_lo
	s_delay_alu instid0(VALU_DEP_2) | instskip(SKIP_1) | instid1(VALU_DEP_3)
	v_mul_lo_u32 v10, s19, v2
	v_mad_u64_u32 v[7:8], null, s18, v2, 0
	v_mul_lo_u32 v11, s18, v9
	s_delay_alu instid0(VALU_DEP_2) | instskip(NEXT) | instid1(VALU_DEP_2)
	v_sub_co_u32 v7, vcc_lo, v5, v7
	v_add3_u32 v8, v8, v11, v10
	s_delay_alu instid0(VALU_DEP_1) | instskip(NEXT) | instid1(VALU_DEP_1)
	v_sub_nc_u32_e32 v10, v6, v8
	v_subrev_co_ci_u32_e64 v10, s2, s19, v10, vcc_lo
	v_add_co_u32 v11, s2, v2, 2
	s_delay_alu instid0(VALU_DEP_1) | instskip(SKIP_3) | instid1(VALU_DEP_3)
	v_add_co_ci_u32_e64 v12, s2, 0, v9, s2
	v_sub_co_u32 v13, s2, v7, s18
	v_sub_co_ci_u32_e32 v8, vcc_lo, v6, v8, vcc_lo
	v_subrev_co_ci_u32_e64 v10, s2, 0, v10, s2
	v_cmp_le_u32_e32 vcc_lo, s18, v13
	s_delay_alu instid0(VALU_DEP_3) | instskip(SKIP_1) | instid1(VALU_DEP_4)
	v_cmp_eq_u32_e64 s2, s19, v8
	v_cndmask_b32_e64 v13, 0, -1, vcc_lo
	v_cmp_le_u32_e32 vcc_lo, s19, v10
	v_cndmask_b32_e64 v14, 0, -1, vcc_lo
	v_cmp_le_u32_e32 vcc_lo, s18, v7
	;; [unrolled: 2-line block ×3, first 2 shown]
	v_cndmask_b32_e64 v15, 0, -1, vcc_lo
	v_cmp_eq_u32_e32 vcc_lo, s19, v10
	s_delay_alu instid0(VALU_DEP_2) | instskip(SKIP_3) | instid1(VALU_DEP_3)
	v_cndmask_b32_e64 v7, v15, v7, s2
	v_cndmask_b32_e32 v10, v14, v13, vcc_lo
	v_add_co_u32 v13, vcc_lo, v2, 1
	v_add_co_ci_u32_e32 v14, vcc_lo, 0, v9, vcc_lo
	v_cmp_ne_u32_e32 vcc_lo, 0, v10
	s_delay_alu instid0(VALU_DEP_2) | instskip(NEXT) | instid1(VALU_DEP_4)
	v_cndmask_b32_e32 v8, v14, v12, vcc_lo
	v_cndmask_b32_e32 v10, v13, v11, vcc_lo
	v_cmp_ne_u32_e32 vcc_lo, 0, v7
	s_delay_alu instid0(VALU_DEP_2)
	v_dual_cndmask_b32 v7, v2, v10 :: v_dual_cndmask_b32 v8, v9, v8
.LBB0_4:                                ;   in Loop: Header=BB0_2 Depth=1
	s_and_not1_saveexec_b32 s2, s3
	s_cbranch_execz .LBB0_6
; %bb.5:                                ;   in Loop: Header=BB0_2 Depth=1
	v_cvt_f32_u32_e32 v2, s18
	s_sub_i32 s3, 0, s18
	s_delay_alu instid0(VALU_DEP_1) | instskip(SKIP_2) | instid1(VALU_DEP_1)
	v_rcp_iflag_f32_e32 v2, v2
	s_waitcnt_depctr 0xfff
	v_mul_f32_e32 v2, 0x4f7ffffe, v2
	v_cvt_u32_f32_e32 v2, v2
	s_delay_alu instid0(VALU_DEP_1) | instskip(NEXT) | instid1(VALU_DEP_1)
	v_mul_lo_u32 v7, s3, v2
	v_mul_hi_u32 v7, v2, v7
	s_delay_alu instid0(VALU_DEP_1) | instskip(NEXT) | instid1(VALU_DEP_1)
	v_add_nc_u32_e32 v2, v2, v7
	v_mul_hi_u32 v2, v5, v2
	s_delay_alu instid0(VALU_DEP_1) | instskip(SKIP_1) | instid1(VALU_DEP_2)
	v_mul_lo_u32 v7, v2, s18
	v_add_nc_u32_e32 v8, 1, v2
	v_sub_nc_u32_e32 v7, v5, v7
	s_delay_alu instid0(VALU_DEP_1) | instskip(SKIP_1) | instid1(VALU_DEP_2)
	v_subrev_nc_u32_e32 v9, s18, v7
	v_cmp_le_u32_e32 vcc_lo, s18, v7
	v_dual_cndmask_b32 v7, v7, v9 :: v_dual_cndmask_b32 v2, v2, v8
	s_delay_alu instid0(VALU_DEP_1) | instskip(NEXT) | instid1(VALU_DEP_2)
	v_cmp_le_u32_e32 vcc_lo, s18, v7
	v_add_nc_u32_e32 v8, 1, v2
	s_delay_alu instid0(VALU_DEP_1)
	v_dual_cndmask_b32 v7, v2, v8 :: v_dual_mov_b32 v8, v1
.LBB0_6:                                ;   in Loop: Header=BB0_2 Depth=1
	s_or_b32 exec_lo, exec_lo, s2
	s_load_b64 s[2:3], s[12:13], 0x0
	s_delay_alu instid0(VALU_DEP_1) | instskip(NEXT) | instid1(VALU_DEP_2)
	v_mul_lo_u32 v2, v8, s18
	v_mul_lo_u32 v11, v7, s19
	v_mad_u64_u32 v[9:10], null, v7, s18, 0
	s_add_u32 s16, s16, 1
	s_addc_u32 s17, s17, 0
	s_add_u32 s12, s12, 8
	s_addc_u32 s13, s13, 0
	;; [unrolled: 2-line block ×3, first 2 shown]
	s_delay_alu instid0(VALU_DEP_1) | instskip(SKIP_1) | instid1(VALU_DEP_2)
	v_add3_u32 v2, v10, v11, v2
	v_sub_co_u32 v9, vcc_lo, v5, v9
	v_sub_co_ci_u32_e32 v2, vcc_lo, v6, v2, vcc_lo
	s_waitcnt lgkmcnt(0)
	s_delay_alu instid0(VALU_DEP_2) | instskip(NEXT) | instid1(VALU_DEP_2)
	v_mul_lo_u32 v10, s3, v9
	v_mul_lo_u32 v2, s2, v2
	v_mad_u64_u32 v[5:6], null, s2, v9, v[3:4]
	v_cmp_ge_u64_e64 s2, s[16:17], s[6:7]
	s_delay_alu instid0(VALU_DEP_1) | instskip(NEXT) | instid1(VALU_DEP_2)
	s_and_b32 vcc_lo, exec_lo, s2
	v_add3_u32 v4, v10, v6, v2
	s_delay_alu instid0(VALU_DEP_3)
	v_mov_b32_e32 v3, v5
	s_cbranch_vccnz .LBB0_9
; %bb.7:                                ;   in Loop: Header=BB0_2 Depth=1
	v_dual_mov_b32 v5, v7 :: v_dual_mov_b32 v6, v8
	s_branch .LBB0_2
.LBB0_8:
	v_dual_mov_b32 v8, v6 :: v_dual_mov_b32 v7, v5
.LBB0_9:
	s_lshl_b64 s[2:3], s[6:7], 3
	v_mul_hi_u32 v1, 0x3291620, v0
	s_add_u32 s2, s10, s2
	s_addc_u32 s3, s11, s3
	s_load_b64 s[0:1], s[0:1], 0x20
	s_load_b64 s[2:3], s[2:3], 0x0
	s_delay_alu instid0(VALU_DEP_1) | instskip(NEXT) | instid1(VALU_DEP_1)
	v_mul_u32_u24_e32 v1, 0x51, v1
	v_sub_nc_u32_e32 v108, v0, v1
	s_delay_alu instid0(VALU_DEP_1)
	v_add_nc_u32_e32 v110, 0x51, v108
	v_add_nc_u32_e32 v121, 0xa2, v108
	;; [unrolled: 1-line block ×5, first 2 shown]
	s_waitcnt lgkmcnt(0)
	v_cmp_gt_u64_e32 vcc_lo, s[0:1], v[7:8]
	v_mul_lo_u32 v2, s2, v8
	v_mul_lo_u32 v5, s3, v7
	v_mad_u64_u32 v[0:1], null, s2, v7, v[3:4]
	v_cmp_le_u64_e64 s0, s[0:1], v[7:8]
	v_add_nc_u32_e32 v117, 0x1e6, v108
	v_add_nc_u32_e32 v116, 0x237, v108
	;; [unrolled: 1-line block ×4, first 2 shown]
	v_add3_u32 v1, v5, v1, v2
	s_and_saveexec_b32 s1, s0
	s_delay_alu instid0(SALU_CYCLE_1)
	s_xor_b32 s0, exec_lo, s1
; %bb.10:
	v_add_nc_u32_e32 v110, 0x51, v108
	v_add_nc_u32_e32 v121, 0xa2, v108
	;; [unrolled: 1-line block ×9, first 2 shown]
; %bb.11:
	s_or_saveexec_b32 s1, s0
	v_lshlrev_b64 v[112:113], 4, v[0:1]
	s_xor_b32 exec_lo, exec_lo, s1
	s_cbranch_execz .LBB0_13
; %bb.12:
	v_mov_b32_e32 v109, 0
	s_delay_alu instid0(VALU_DEP_2) | instskip(NEXT) | instid1(VALU_DEP_1)
	v_add_co_u32 v2, s0, s8, v112
	v_add_co_ci_u32_e64 v3, s0, s9, v113, s0
	s_delay_alu instid0(VALU_DEP_3) | instskip(SKIP_1) | instid1(VALU_DEP_2)
	v_lshlrev_b64 v[0:1], 4, v[108:109]
	v_lshl_add_u32 v109, v108, 4, 0
	v_add_co_u32 v32, s0, v2, v0
	s_delay_alu instid0(VALU_DEP_1) | instskip(SKIP_4) | instid1(VALU_DEP_1)
	v_add_co_ci_u32_e64 v33, s0, v3, v1, s0
	s_clause 0x1
	global_load_b128 v[0:3], v[32:33], off
	global_load_b128 v[4:7], v[32:33], off offset:1296
	v_add_co_u32 v24, s0, 0x1000, v32
	v_add_co_ci_u32_e64 v25, s0, 0, v33, s0
	v_add_co_u32 v36, s0, 0x2000, v32
	s_delay_alu instid0(VALU_DEP_1) | instskip(SKIP_1) | instid1(VALU_DEP_1)
	v_add_co_ci_u32_e64 v37, s0, 0, v33, s0
	v_add_co_u32 v48, s0, 0x3000, v32
	v_add_co_ci_u32_e64 v49, s0, 0, v33, s0
	v_add_co_u32 v60, s0, 0x4000, v32
	s_delay_alu instid0(VALU_DEP_1) | instskip(SKIP_1) | instid1(VALU_DEP_1)
	v_add_co_ci_u32_e64 v61, s0, 0, v33, s0
	v_add_co_u32 v72, s0, 0x5000, v32
	v_add_co_ci_u32_e64 v73, s0, 0, v33, s0
	v_add_co_u32 v88, s0, 0x6000, v32
	s_delay_alu instid0(VALU_DEP_1) | instskip(SKIP_1) | instid1(VALU_DEP_1)
	v_add_co_ci_u32_e64 v89, s0, 0, v33, s0
	v_add_co_u32 v100, s0, 0x7000, v32
	v_add_co_ci_u32_e64 v101, s0, 0, v33, s0
	v_add_co_u32 v126, s0, 0x8000, v32
	s_delay_alu instid0(VALU_DEP_1) | instskip(SKIP_1) | instid1(VALU_DEP_1)
	v_add_co_ci_u32_e64 v127, s0, 0, v33, s0
	v_add_co_u32 v130, s0, 0x9000, v32
	v_add_co_ci_u32_e64 v131, s0, 0, v33, s0
	s_clause 0x1b
	global_load_b128 v[8:11], v[32:33], off offset:2592
	global_load_b128 v[12:15], v[32:33], off offset:3888
	global_load_b128 v[16:19], v[24:25], off offset:1088
	global_load_b128 v[20:23], v[24:25], off offset:2384
	global_load_b128 v[24:27], v[24:25], off offset:3680
	global_load_b128 v[28:31], v[36:37], off offset:880
	global_load_b128 v[32:35], v[36:37], off offset:2176
	global_load_b128 v[36:39], v[36:37], off offset:3472
	global_load_b128 v[40:43], v[48:49], off offset:672
	global_load_b128 v[44:47], v[48:49], off offset:1968
	global_load_b128 v[48:51], v[48:49], off offset:3264
	global_load_b128 v[52:55], v[60:61], off offset:464
	global_load_b128 v[56:59], v[60:61], off offset:1760
	global_load_b128 v[60:63], v[60:61], off offset:3056
	global_load_b128 v[64:67], v[72:73], off offset:256
	global_load_b128 v[68:71], v[72:73], off offset:1552
	global_load_b128 v[72:75], v[72:73], off offset:2848
	global_load_b128 v[76:79], v[88:89], off offset:48
	global_load_b128 v[80:83], v[88:89], off offset:1344
	global_load_b128 v[84:87], v[88:89], off offset:2640
	global_load_b128 v[88:91], v[88:89], off offset:3936
	global_load_b128 v[92:95], v[100:101], off offset:1136
	global_load_b128 v[96:99], v[100:101], off offset:2432
	global_load_b128 v[100:103], v[100:101], off offset:3728
	global_load_b128 v[104:107], v[126:127], off offset:928
	global_load_b128 v[122:125], v[126:127], off offset:2224
	global_load_b128 v[126:129], v[126:127], off offset:3520
	global_load_b128 v[130:133], v[130:131], off offset:720
	s_waitcnt vmcnt(29)
	ds_store_b128 v109, v[0:3]
	s_waitcnt vmcnt(28)
	ds_store_b128 v109, v[4:7] offset:1296
	s_waitcnt vmcnt(27)
	ds_store_b128 v109, v[8:11] offset:2592
	;; [unrolled: 2-line block ×29, first 2 shown]
.LBB0_13:
	s_or_b32 exec_lo, exec_lo, s1
	v_lshlrev_b32_e32 v109, 4, v108
	s_waitcnt lgkmcnt(0)
	s_barrier
	buffer_gl0_inv
	s_mov_b32 s0, 0x134454ff
	v_add_nc_u32_e32 v150, 0, v109
	s_mov_b32 s1, 0x3fee6f0e
	s_mov_b32 s6, 0x4755a5e
	;; [unrolled: 1-line block ×4, first 2 shown]
	ds_load_b128 v[36:39], v150 offset:7776
	ds_load_b128 v[8:11], v150
	ds_load_b128 v[32:35], v150 offset:11664
	ds_load_b128 v[12:15], v150 offset:3888
	;; [unrolled: 1-line block ×24, first 2 shown]
	s_mov_b32 s7, 0x3fe2cf23
	s_mov_b32 s12, 0x372fe950
	;; [unrolled: 1-line block ×4, first 2 shown]
	s_waitcnt lgkmcnt(15)
	v_add_f64 v[146:147], v[76:77], v[72:73]
	v_add_f64 v[175:176], v[78:79], v[74:75]
	v_add_f64 v[179:180], v[78:79], -v[74:75]
	s_waitcnt lgkmcnt(12)
	v_add_f64 v[153:154], v[68:69], v[88:89]
	s_waitcnt lgkmcnt(11)
	v_add_f64 v[201:202], v[84:85], -v[92:93]
	s_waitcnt lgkmcnt(10)
	v_add_f64 v[161:162], v[96:97], -v[88:89]
	v_add_f64 v[171:172], v[88:89], -v[96:97]
	v_add_f64 v[173:174], v[70:71], v[90:91]
	v_add_f64 v[159:160], v[36:37], -v[68:69]
	v_add_f64 v[20:21], v[8:9], v[36:37]
	v_add_f64 v[22:23], v[10:11], v[38:39]
	;; [unrolled: 1-line block ×5, first 2 shown]
	s_waitcnt lgkmcnt(3)
	v_add_f64 v[163:164], v[64:65], v[104:105]
	v_add_f64 v[165:166], v[66:67], v[106:107]
	;; [unrolled: 1-line block ×4, first 2 shown]
	v_add_f64 v[169:170], v[68:69], -v[36:37]
	v_add_f64 v[183:184], v[34:35], -v[82:83]
	;; [unrolled: 1-line block ×6, first 2 shown]
	v_add_f64 v[151:152], v[32:33], v[80:81]
	v_add_f64 v[167:168], v[36:37], v[96:97]
	;; [unrolled: 1-line block ×3, first 2 shown]
	v_add_f64 v[193:194], v[86:87], -v[94:95]
	v_add_f64 v[199:200], v[86:87], v[94:95]
	v_add_f64 v[203:204], v[86:87], -v[30:31]
	v_add_f64 v[155:156], v[38:39], -v[98:99]
	v_add_f64 v[157:158], v[70:71], -v[90:91]
	v_add_f64 v[181:182], v[76:77], -v[72:73]
	v_add_f64 v[185:186], v[38:39], -v[70:71]
	v_add_f64 v[38:39], v[70:71], -v[38:39]
	v_add_f64 v[187:188], v[90:91], -v[98:99]
	v_add_f64 v[189:190], v[32:33], -v[76:77]
	v_add_f64 v[205:206], v[30:31], -v[102:103]
	v_add_f64 v[36:37], v[36:37], -v[96:97]
	s_mov_b32 s13, 0x3fd3c6ef
	s_mov_b32 s14, 0x9b97f4a8
	;; [unrolled: 1-line block ×3, first 2 shown]
	v_add_f64 v[211:212], v[54:55], v[18:19]
	v_add_f64 v[215:216], v[42:43], v[2:3]
	;; [unrolled: 1-line block ×8, first 2 shown]
	v_add_f64 v[68:69], v[68:69], -v[88:89]
	ds_load_b128 v[126:129], v150 offset:28512
	ds_load_b128 v[20:23], v150 offset:29808
	v_add_f64 v[136:137], v[136:137], v[86:87]
	ds_load_b128 v[130:133], v150 offset:36288
	ds_load_b128 v[60:63], v150 offset:37584
	v_add_f64 v[70:71], v[98:99], -v[90:91]
	v_add_f64 v[76:77], v[76:77], -v[32:33]
	;; [unrolled: 1-line block ×3, first 2 shown]
	v_add_f64 v[169:170], v[169:170], v[171:172]
	s_waitcnt lgkmcnt(0)
	s_barrier
	buffer_gl0_inv
	v_fma_f64 v[167:168], v[167:168], -0.5, v[8:9]
	v_fma_f64 v[8:9], v[153:154], -0.5, v[8:9]
	v_add_f64 v[153:154], v[92:93], -v[100:101]
	v_add_f64 v[38:39], v[38:39], v[187:188]
	v_add_f64 v[207:208], v[130:131], -v[126:127]
	v_add_f64 v[209:210], v[132:133], -v[128:129]
	v_add_f64 v[78:79], v[138:139], v[88:89]
	v_add_f64 v[88:89], v[140:141], v[90:91]
	;; [unrolled: 1-line block ×7, first 2 shown]
	v_add_f64 v[165:166], v[30:31], -v[86:87]
	v_fma_f64 v[86:87], v[146:147], -0.5, v[12:13]
	v_add_f64 v[90:91], v[80:81], -v[72:73]
	v_add_f64 v[72:73], v[72:73], -v[80:81]
	;; [unrolled: 1-line block ×3, first 2 shown]
	v_add_f64 v[134:135], v[134:135], v[92:93]
	v_add_f64 v[136:137], v[136:137], v[94:95]
	v_add_f64 v[74:75], v[74:75], -v[82:83]
	v_fma_f64 v[146:147], v[148:149], -0.5, v[14:15]
	v_fma_f64 v[12:13], v[151:152], -0.5, v[12:13]
	;; [unrolled: 1-line block ×3, first 2 shown]
	v_add_f64 v[148:149], v[28:29], v[100:101]
	v_add_f64 v[151:152], v[28:29], -v[100:101]
	v_add_f64 v[28:29], v[30:31], v[102:103]
	v_add_f64 v[30:31], v[100:101], -v[92:93]
	v_fma_f64 v[175:176], v[177:178], -0.5, v[10:11]
	v_fma_f64 v[10:11], v[173:174], -0.5, v[10:11]
	v_add_f64 v[173:174], v[102:103], -v[94:95]
	v_add_f64 v[177:178], v[94:95], -v[102:103]
	v_add_f64 v[92:93], v[122:123], v[126:127]
	v_add_f64 v[94:95], v[104:105], -v[122:123]
	v_add_f64 v[70:71], v[185:186], v[70:71]
	v_fma_f64 v[185:186], v[211:212], -0.5, v[26:27]
	v_add_f64 v[211:212], v[46:47], -v[58:59]
	v_add_f64 v[78:79], v[78:79], v[96:97]
	v_add_f64 v[88:89], v[88:89], v[98:99]
	v_add_f64 v[96:97], v[124:125], -v[128:129]
	v_fma_f64 v[144:145], v[144:145], -0.5, v[4:5]
	v_add_f64 v[84:85], v[84:85], v[126:127]
	v_add_f64 v[163:164], v[163:164], v[128:129]
	;; [unrolled: 1-line block ×4, first 2 shown]
	v_add_f64 v[140:141], v[122:123], -v[104:105]
	v_add_f64 v[122:123], v[122:123], -v[126:127]
	v_add_f64 v[82:83], v[104:105], v[130:131]
	v_add_f64 v[104:105], v[104:105], -v[130:131]
	v_add_f64 v[126:127], v[126:127], -v[130:131]
	v_add_f64 v[80:81], v[124:125], v[128:129]
	v_add_f64 v[100:101], v[134:135], v[100:101]
	;; [unrolled: 1-line block ×3, first 2 shown]
	v_add_f64 v[134:135], v[106:107], -v[124:125]
	v_add_f64 v[124:125], v[124:125], -v[106:107]
	;; [unrolled: 1-line block ×3, first 2 shown]
	v_add_f64 v[106:107], v[106:107], v[132:133]
	v_add_f64 v[128:129], v[128:129], -v[132:133]
	v_add_f64 v[90:91], v[189:190], v[90:91]
	v_add_f64 v[72:73], v[76:77], v[72:73]
	v_fma_f64 v[76:77], v[179:180], s[2:3], v[12:13]
	v_fma_f64 v[12:13], v[179:180], s[0:1], v[12:13]
	v_add_f64 v[34:35], v[34:35], v[74:75]
	v_fma_f64 v[74:75], v[157:158], s[2:3], v[167:168]
	v_fma_f64 v[171:172], v[32:33], s[2:3], v[14:15]
	v_add_f64 v[142:143], v[191:192], v[142:143]
	v_add_f64 v[189:190], v[24:25], v[40:41]
	v_fma_f64 v[148:149], v[148:149], -0.5, v[4:5]
	v_fma_f64 v[191:192], v[199:200], -0.5, v[6:7]
	;; [unrolled: 1-line block ×3, first 2 shown]
	v_add_f64 v[28:29], v[52:53], v[16:17]
	v_fma_f64 v[92:93], v[92:93], -0.5, v[64:65]
	v_add_f64 v[177:178], v[203:204], v[177:178]
	v_add_f64 v[84:85], v[84:85], v[130:131]
	;; [unrolled: 1-line block ×3, first 2 shown]
	v_fma_f64 v[163:164], v[183:184], s[0:1], v[86:87]
	v_fma_f64 v[132:133], v[157:158], s[0:1], v[167:168]
	;; [unrolled: 1-line block ×5, first 2 shown]
	v_fma_f64 v[64:65], v[82:83], -0.5, v[64:65]
	v_add_f64 v[82:83], v[88:89], v[138:139]
	v_fma_f64 v[213:214], v[80:81], -0.5, v[66:67]
	v_add_f64 v[80:81], v[78:79], v[98:99]
	v_add_f64 v[126:127], v[140:141], v[126:127]
	;; [unrolled: 1-line block ×3, first 2 shown]
	v_fma_f64 v[66:67], v[106:107], -0.5, v[66:67]
	v_add_f64 v[106:107], v[40:41], v[0:1]
	v_add_f64 v[124:125], v[124:125], v[128:129]
	v_fma_f64 v[76:77], v[183:184], s[6:7], v[76:77]
	v_fma_f64 v[12:13], v[183:184], s[10:11], v[12:13]
	;; [unrolled: 1-line block ×5, first 2 shown]
	v_add_f64 v[128:129], v[189:190], v[52:53]
	v_fma_f64 v[217:218], v[136:137], s[2:3], v[92:93]
	v_add_f64 v[4:5], v[100:101], -v[84:85]
	v_add_f64 v[6:7], v[102:103], -v[130:131]
	v_fma_f64 v[163:164], v[179:180], s[6:7], v[163:164]
	v_fma_f64 v[132:133], v[155:156], s[10:11], v[132:133]
	;; [unrolled: 1-line block ×10, first 2 shown]
	v_add_f64 v[179:180], v[42:43], -v[54:55]
	v_fma_f64 v[106:107], v[106:107], -0.5, v[24:25]
	v_fma_f64 v[76:77], v[72:73], s[12:13], v[76:77]
	v_fma_f64 v[72:73], v[72:73], s[12:13], v[12:13]
	v_add_f64 v[12:13], v[78:79], -v[98:99]
	v_fma_f64 v[161:162], v[157:158], s[6:7], v[183:184]
	v_fma_f64 v[78:79], v[142:143], s[12:13], v[171:172]
	;; [unrolled: 1-line block ×3, first 2 shown]
	v_add_f64 v[171:172], v[40:41], -v[52:53]
	v_fma_f64 v[163:164], v[90:91], s[12:13], v[163:164]
	v_fma_f64 v[155:156], v[157:158], s[10:11], v[155:156]
	;; [unrolled: 1-line block ×5, first 2 shown]
	v_add_f64 v[8:9], v[100:101], v[84:85]
	v_fma_f64 v[175:176], v[36:37], s[6:7], v[175:176]
	v_add_f64 v[146:147], v[26:27], v[42:43]
	v_fma_f64 v[36:37], v[36:37], s[0:1], v[10:11]
	v_fma_f64 v[183:184], v[68:69], s[10:11], v[14:15]
	v_add_f64 v[14:15], v[88:89], -v[138:139]
	v_add_f64 v[10:11], v[102:103], v[130:131]
	v_fma_f64 v[100:101], v[169:170], s[12:13], v[132:133]
	v_fma_f64 v[157:158], v[181:182], s[6:7], v[32:33]
	v_add_f64 v[169:170], v[94:95], v[207:208]
	v_add_f64 v[32:33], v[50:51], v[46:47]
	v_mul_f64 v[130:131], v[76:77], s[2:3]
	v_mul_f64 v[132:133], v[72:73], s[12:13]
	v_add_f64 v[94:95], v[56:57], v[20:21]
	v_fma_f64 v[181:182], v[28:29], -0.5, v[24:25]
	v_add_f64 v[24:25], v[44:45], v[60:61]
	v_add_f64 v[28:29], v[46:47], v[62:63]
	v_fma_f64 v[161:162], v[159:160], s[12:13], v[161:162]
	v_mul_f64 v[84:85], v[163:164], s[14:15]
	v_mul_f64 v[88:89], v[163:164], s[10:11]
	v_add_f64 v[163:164], v[195:196], v[30:31]
	v_fma_f64 v[98:99], v[38:39], s[12:13], v[187:188]
	v_mul_f64 v[102:103], v[167:168], s[0:1]
	v_mul_f64 v[138:139], v[34:35], s[12:13]
	v_add_f64 v[30:31], v[48:49], v[44:45]
	v_fma_f64 v[187:188], v[215:216], -0.5, v[26:27]
	v_add_f64 v[26:27], v[58:59], v[22:23]
	v_fma_f64 v[38:39], v[38:39], s[12:13], v[175:176]
	v_fma_f64 v[215:216], v[136:137], s[0:1], v[92:93]
	;; [unrolled: 1-line block ×5, first 2 shown]
	v_add_f64 v[140:141], v[146:147], v[54:55]
	v_add_f64 v[146:147], v[54:55], -v[18:19]
	v_add_f64 v[195:196], v[32:33], v[58:59]
	v_fma_f64 v[130:131], v[167:168], s[12:13], v[130:131]
	v_fma_f64 v[34:35], v[34:35], s[0:1], -v[132:133]
	v_add_f64 v[132:133], v[44:45], -v[56:57]
	v_fma_f64 v[167:168], v[70:71], s[12:13], v[183:184]
	v_fma_f64 v[207:208], v[24:25], -0.5, v[48:49]
	v_fma_f64 v[48:49], v[94:95], -0.5, v[48:49]
	v_add_f64 v[175:176], v[52:53], -v[40:41]
	v_add_f64 v[52:53], v[52:53], -v[16:17]
	;; [unrolled: 1-line block ×5, first 2 shown]
	v_fma_f64 v[155:156], v[159:160], s[12:13], v[155:156]
	v_fma_f64 v[189:190], v[78:79], s[6:7], v[84:85]
	v_fma_f64 v[84:85], v[96:97], s[2:3], v[64:65]
	v_fma_f64 v[64:65], v[96:97], s[0:1], v[64:65]
	v_fma_f64 v[78:79], v[78:79], s[14:15], v[88:89]
	v_fma_f64 v[76:77], v[76:77], s[12:13], v[102:103]
	v_add_f64 v[102:103], v[58:59], -v[22:23]
	v_fma_f64 v[88:89], v[122:123], s[0:1], v[66:67]
	v_fma_f64 v[66:67], v[122:123], s[2:3], v[66:67]
	v_fma_f64 v[72:73], v[72:73], s[2:3], -v[138:139]
	v_add_f64 v[138:139], v[56:57], -v[44:45]
	v_add_f64 v[183:184], v[30:31], v[56:57]
	v_fma_f64 v[209:210], v[26:27], -0.5, v[50:51]
	v_fma_f64 v[50:51], v[28:29], -0.5, v[50:51]
	v_add_f64 v[56:57], v[56:57], -v[20:21]
	v_add_f64 v[58:59], v[58:59], -v[46:47]
	;; [unrolled: 1-line block ×5, first 2 shown]
	v_add_f64 v[92:93], v[100:101], v[34:35]
	v_add_f64 v[32:33], v[100:101], -v[34:35]
	v_fma_f64 v[68:69], v[122:123], s[10:11], v[68:69]
	v_fma_f64 v[122:123], v[122:123], s[6:7], v[213:214]
	;; [unrolled: 1-line block ×3, first 2 shown]
	v_add_f64 v[70:71], v[165:166], v[173:174]
	v_fma_f64 v[165:166], v[201:202], s[2:3], v[199:200]
	v_fma_f64 v[173:174], v[52:53], s[2:3], v[187:188]
	v_add_f64 v[24:25], v[161:162], -v[189:190]
	v_fma_f64 v[219:220], v[136:137], s[6:7], v[84:85]
	v_fma_f64 v[64:65], v[136:137], s[10:11], v[64:65]
	v_add_f64 v[136:137], v[60:61], -v[20:21]
	v_add_f64 v[26:27], v[167:168], -v[78:79]
	;; [unrolled: 1-line block ×3, first 2 shown]
	v_fma_f64 v[221:222], v[104:105], s[10:11], v[88:89]
	v_fma_f64 v[66:67], v[104:105], s[6:7], v[66:67]
	;; [unrolled: 1-line block ×3, first 2 shown]
	v_add_f64 v[86:87], v[167:168], v[78:79]
	v_add_f64 v[88:89], v[74:75], v[76:77]
	;; [unrolled: 1-line block ×4, first 2 shown]
	v_add_f64 v[34:35], v[38:39], -v[72:73]
	v_fma_f64 v[38:39], v[142:143], s[12:13], v[157:158]
	v_add_f64 v[72:73], v[20:21], -v[60:61]
	v_fma_f64 v[74:75], v[46:47], s[0:1], v[48:49]
	v_fma_f64 v[76:77], v[96:97], s[6:7], v[215:216]
	;; [unrolled: 1-line block ×3, first 2 shown]
	v_add_f64 v[96:97], v[22:23], -v[62:63]
	v_fma_f64 v[98:99], v[56:57], s[0:1], v[50:51]
	v_fma_f64 v[100:101], v[102:103], s[2:3], v[207:208]
	v_fma_f64 v[130:131], v[102:103], s[0:1], v[207:208]
	v_fma_f64 v[50:51], v[56:57], s[2:3], v[50:51]
	v_fma_f64 v[48:49], v[46:47], s[2:3], v[48:49]
	v_add_f64 v[142:143], v[62:63], -v[22:23]
	v_fma_f64 v[157:158], v[44:45], s[2:3], v[209:210]
	v_add_f64 v[84:85], v[161:162], v[189:190]
	v_fma_f64 v[161:162], v[193:194], s[2:3], v[148:149]
	v_fma_f64 v[148:149], v[193:194], s[0:1], v[148:149]
	v_fma_f64 v[167:168], v[151:152], s[0:1], v[191:192]
	v_fma_f64 v[122:123], v[134:135], s[12:13], v[122:123]
	v_fma_f64 v[68:69], v[134:135], s[12:13], v[68:69]
	v_add_f64 v[134:135], v[2:3], -v[18:19]
	v_add_f64 v[20:21], v[183:184], v[20:21]
	v_add_f64 v[22:23], v[195:196], v[22:23]
	v_add_nc_u32_e32 v215, -9, v108
	v_fma_f64 v[159:160], v[126:127], s[12:13], v[219:220]
	v_fma_f64 v[64:65], v[126:127], s[12:13], v[64:65]
	v_add_f64 v[132:133], v[132:133], v[136:137]
	v_fma_f64 v[136:137], v[44:45], s[0:1], v[209:210]
	v_fma_f64 v[126:127], v[201:202], s[0:1], v[199:200]
	v_fma_f64 v[66:67], v[124:125], s[12:13], v[66:67]
	v_add_f64 v[72:73], v[138:139], v[72:73]
	v_fma_f64 v[74:75], v[102:103], s[6:7], v[74:75]
	;; [unrolled: 4-line block ×3, first 2 shown]
	v_fma_f64 v[98:99], v[46:47], s[6:7], v[100:101]
	v_fma_f64 v[46:47], v[46:47], s[10:11], v[130:131]
	v_fma_f64 v[44:45], v[44:45], s[6:7], v[50:51]
	v_fma_f64 v[48:49], v[102:103], s[10:11], v[48:49]
	v_add_f64 v[130:131], v[211:212], v[142:143]
	v_fma_f64 v[102:103], v[205:206], s[0:1], v[144:145]
	v_add_f64 v[142:143], v[197:198], v[153:154]
	v_fma_f64 v[153:154], v[124:125], s[12:13], v[221:222]
	v_fma_f64 v[144:145], v[205:206], s[2:3], v[144:145]
	;; [unrolled: 1-line block ×3, first 2 shown]
	v_mul_f64 v[50:51], v[104:105], s[14:15]
	v_add_f64 v[124:125], v[128:129], v[16:17]
	v_add_f64 v[128:129], v[140:141], v[18:19]
	v_add_f64 v[140:141], v[0:1], -v[16:17]
	v_add_f64 v[16:17], v[16:17], -v[0:1]
	;; [unrolled: 1-line block ×3, first 2 shown]
	v_fma_f64 v[169:170], v[40:41], s[2:3], v[185:186]
	v_fma_f64 v[185:186], v[40:41], s[0:1], v[185:186]
	v_mul_f64 v[100:101], v[38:39], s[14:15]
	v_fma_f64 v[161:162], v[205:206], s[6:7], v[161:162]
	v_mul_f64 v[189:190], v[159:160], s[2:3]
	v_fma_f64 v[136:137], v[56:57], s[6:7], v[136:137]
	v_fma_f64 v[56:57], v[56:57], s[10:11], v[157:158]
	;; [unrolled: 1-line block ×7, first 2 shown]
	v_mul_f64 v[165:166], v[64:65], s[12:13]
	v_mul_f64 v[183:184], v[66:67], s[12:13]
	v_fma_f64 v[167:168], v[201:202], s[6:7], v[167:168]
	v_add_f64 v[134:135], v[179:180], v[134:135]
	v_add_f64 v[20:21], v[20:21], v[60:61]
	v_fma_f64 v[74:75], v[132:133], s[12:13], v[74:75]
	v_add_f64 v[22:23], v[22:23], v[62:63]
	v_fma_f64 v[138:139], v[201:202], s[10:11], v[138:139]
	v_fma_f64 v[96:97], v[58:59], s[12:13], v[96:97]
	v_fma_f64 v[98:99], v[72:73], s[12:13], v[98:99]
	v_fma_f64 v[46:47], v[72:73], s[12:13], v[46:47]
	v_fma_f64 v[72:73], v[146:147], s[2:3], v[106:107]
	v_fma_f64 v[44:45], v[58:59], s[12:13], v[44:45]
	v_fma_f64 v[58:59], v[52:53], s[0:1], v[187:188]
	v_fma_f64 v[48:49], v[132:133], s[12:13], v[48:49]
	v_fma_f64 v[106:107], v[146:147], s[0:1], v[106:107]
	v_mul_f64 v[132:133], v[76:77], s[14:15]
	v_mul_f64 v[76:77], v[76:77], s[10:11]
	v_fma_f64 v[102:103], v[193:194], s[6:7], v[102:103]
	v_mul_f64 v[187:188], v[153:154], s[0:1]
	v_fma_f64 v[144:145], v[193:194], s[10:11], v[144:145]
	v_mul_f64 v[191:192], v[78:79], s[14:15]
	v_mul_f64 v[193:194], v[122:123], s[14:15]
	v_add_f64 v[140:141], v[171:172], v[140:141]
	v_add_f64 v[16:17], v[175:176], v[16:17]
	v_fma_f64 v[169:170], v[52:53], s[10:11], v[169:170]
	v_add_f64 v[18:19], v[54:55], v[18:19]
	v_fma_f64 v[38:39], v[38:39], s[6:7], -v[50:51]
	v_fma_f64 v[52:53], v[52:53], s[6:7], v[185:186]
	v_fma_f64 v[104:105], v[104:105], s[10:11], -v[100:101]
	v_fma_f64 v[136:137], v[130:131], s[12:13], v[136:137]
	v_fma_f64 v[56:57], v[130:131], s[12:13], v[56:57]
	;; [unrolled: 1-line block ×9, first 2 shown]
	v_fma_f64 v[66:67], v[66:67], s[0:1], -v[165:166]
	v_fma_f64 v[64:65], v[64:65], s[2:3], -v[183:184]
	v_add_f64 v[0:1], v[124:125], v[0:1]
	v_mul_f64 v[130:131], v[74:75], s[14:15]
	v_mul_f64 v[74:75], v[74:75], s[10:11]
	v_fma_f64 v[138:139], v[70:71], s[12:13], v[138:139]
	v_fma_f64 v[70:71], v[70:71], s[12:13], v[167:168]
	v_mul_f64 v[54:55], v[96:97], s[0:1]
	v_mul_f64 v[171:172], v[98:99], s[2:3]
	v_add_f64 v[2:3], v[128:129], v[2:3]
	v_fma_f64 v[72:73], v[42:43], s[6:7], v[72:73]
	v_fma_f64 v[58:59], v[40:41], s[10:11], v[58:59]
	v_mul_f64 v[146:147], v[48:49], s[14:15]
	v_fma_f64 v[42:43], v[42:43], s[10:11], v[106:107]
	v_fma_f64 v[40:41], v[40:41], s[6:7], v[173:174]
	v_mul_f64 v[106:107], v[46:47], s[12:13]
	v_mul_f64 v[173:174], v[44:45], s[12:13]
	v_fma_f64 v[132:133], v[68:69], s[6:7], v[132:133]
	v_fma_f64 v[68:69], v[68:69], s[14:15], v[76:77]
	v_fma_f64 v[76:77], v[163:164], s[12:13], v[102:103]
	v_fma_f64 v[159:160], v[159:160], s[12:13], v[187:188]
	v_fma_f64 v[144:145], v[163:164], s[12:13], v[144:145]
	v_fma_f64 v[151:152], v[122:123], s[6:7], -v[191:192]
	v_fma_f64 v[163:164], v[78:79], s[10:11], -v[193:194]
	v_fma_f64 v[167:168], v[134:135], s[12:13], v[169:170]
	v_add_f64 v[100:101], v[155:156], -v[38:39]
	v_fma_f64 v[134:135], v[134:135], s[12:13], v[52:53]
	v_add_f64 v[102:103], v[36:37], -v[104:105]
	v_mul_f64 v[175:176], v[136:137], s[14:15]
	v_fma_f64 v[157:158], v[140:141], s[12:13], v[157:158]
	v_fma_f64 v[140:141], v[140:141], s[12:13], v[50:51]
	v_add_f64 v[124:125], v[126:127], v[153:154]
	v_add_f64 v[78:79], v[126:127], -v[153:154]
	v_add_f64 v[126:127], v[142:143], v[66:67]
	v_add_f64 v[128:129], v[148:149], v[64:65]
	v_fma_f64 v[165:166], v[56:57], s[6:7], v[130:131]
	v_fma_f64 v[56:57], v[56:57], s[14:15], v[74:75]
	v_fma_f64 v[169:170], v[98:99], s[12:13], v[54:55]
	v_fma_f64 v[171:172], v[96:97], s[12:13], v[171:172]
	v_add_f64 v[96:97], v[155:156], v[38:39]
	v_fma_f64 v[177:178], v[16:17], s[12:13], v[72:73]
	v_add_f64 v[98:99], v[36:37], v[104:105]
	v_fma_f64 v[179:180], v[18:19], s[12:13], v[58:59]
	v_fma_f64 v[136:137], v[136:137], s[6:7], -v[146:147]
	v_fma_f64 v[16:17], v[16:17], s[12:13], v[42:43]
	v_fma_f64 v[18:19], v[18:19], s[12:13], v[40:41]
	v_fma_f64 v[181:182], v[44:45], s[0:1], -v[106:107]
	v_fma_f64 v[173:174], v[46:47], s[2:3], -v[173:174]
	v_add_f64 v[44:45], v[142:143], -v[66:67]
	v_add_f64 v[106:107], v[138:139], v[68:69]
	v_add_f64 v[104:105], v[76:77], v[132:133]
	;; [unrolled: 1-line block ×3, first 2 shown]
	v_add_f64 v[72:73], v[76:77], -v[132:133]
	v_add_f64 v[130:131], v[144:145], v[151:152]
	v_add_f64 v[132:133], v[70:71], v[163:164]
	v_add_f64 v[74:75], v[138:139], -v[68:69]
	v_add_f64 v[46:47], v[148:149], -v[64:65]
	;; [unrolled: 1-line block ×3, first 2 shown]
	v_add_f64 v[50:51], v[2:3], v[22:23]
	v_fma_f64 v[146:147], v[48:49], s[10:11], -v[175:176]
	v_add_f64 v[48:49], v[0:1], v[20:21]
	v_add_f64 v[40:41], v[0:1], -v[20:21]
	v_add_f64 v[42:43], v[2:3], -v[22:23]
	;; [unrolled: 1-line block ×4, first 2 shown]
	v_mul_u32_u24_e32 v38, 10, v108
	v_and_b32_e32 v163, 0xffff, v117
	v_and_b32_e32 v164, 0xffff, v116
	;; [unrolled: 1-line block ×4, first 2 shown]
	v_lshl_add_u32 v111, v38, 4, 0
	v_add_f64 v[0:1], v[157:158], -v[165:166]
	v_add_f64 v[62:63], v[167:168], v[56:57]
	v_add_f64 v[2:3], v[167:168], -v[56:57]
	v_add_f64 v[60:61], v[157:158], v[165:166]
	ds_store_b128 v111, v[80:83]
	ds_store_b128 v111, v[84:87] offset:16
	v_and_b32_e32 v80, 0xff, v108
	v_mul_i32_i24_e32 v81, 10, v110
	v_add_f64 v[56:57], v[177:178], v[169:170]
	v_add_f64 v[20:21], v[177:178], -v[169:170]
	v_add_f64 v[58:59], v[179:180], v[171:172]
	v_add_f64 v[68:69], v[140:141], v[136:137]
	v_add_f64 v[22:23], v[179:180], -v[171:172]
	v_add_f64 v[36:37], v[140:141], -v[136:137]
	v_add_f64 v[64:65], v[16:17], v[181:182]
	v_add_f64 v[66:67], v[18:19], v[173:174]
	v_add_f64 v[16:17], v[16:17], -v[181:182]
	v_add_f64 v[18:19], v[18:19], -v[173:174]
	ds_store_b128 v111, v[88:91] offset:32
	ds_store_b128 v111, v[92:95] offset:48
	;; [unrolled: 1-line block ×4, first 2 shown]
	v_mul_lo_u16 v12, 0xcd, v80
	v_lshl_add_u32 v152, v81, 4, 0
	ds_store_b128 v111, v[24:27] offset:96
	ds_store_b128 v111, v[28:31] offset:112
	;; [unrolled: 1-line block ×4, first 2 shown]
	ds_store_b128 v152, v[8:11]
	ds_store_b128 v152, v[104:107] offset:16
	v_mul_i32_i24_e32 v8, 10, v121
	v_lshrrev_b16 v90, 11, v12
	v_add_f64 v[70:71], v[134:135], v[146:147]
	v_add_f64 v[38:39], v[134:135], -v[146:147]
	v_and_b32_e32 v81, 0xff, v110
	ds_store_b128 v152, v[122:125] offset:32
	ds_store_b128 v152, v[126:129] offset:48
	;; [unrolled: 1-line block ×4, first 2 shown]
	v_lshl_add_u32 v151, v8, 4, 0
	v_mul_lo_u16 v4, v90, 10
	v_and_b32_e32 v167, 0xff, v121
	v_mul_lo_u16 v5, 0xcd, v81
	ds_store_b128 v152, v[72:75] offset:96
	ds_store_b128 v152, v[76:79] offset:112
	;; [unrolled: 1-line block ×4, first 2 shown]
	v_sub_nc_u16 v4, v108, v4
	ds_store_b128 v151, v[48:51]
	ds_store_b128 v151, v[60:63] offset:16
	ds_store_b128 v151, v[56:59] offset:32
	;; [unrolled: 1-line block ×3, first 2 shown]
	v_lshrrev_b16 v96, 11, v5
	v_and_b32_e32 v95, 0xff, v4
	v_and_b32_e32 v168, 0xffff, v120
	;; [unrolled: 1-line block ×3, first 2 shown]
	ds_store_b128 v151, v[68:71] offset:64
	ds_store_b128 v151, v[40:43] offset:80
	;; [unrolled: 1-line block ×4, first 2 shown]
	v_mul_lo_u16 v1, 0xcd, v167
	v_mul_lo_u16 v0, v96, 10
	v_lshlrev_b32_e32 v4, 5, v95
	v_mul_u32_u24_e32 v6, 0xcccd, v168
	ds_store_b128 v151, v[16:19] offset:128
	ds_store_b128 v151, v[36:39] offset:144
	v_lshrrev_b16 v101, 11, v1
	v_sub_nc_u16 v5, v110, v0
	s_waitcnt lgkmcnt(0)
	s_barrier
	buffer_gl0_inv
	v_mul_lo_u16 v8, v101, 10
	global_load_b128 v[0:3], v4, s[4:5]
	v_lshrrev_b32_e32 v97, 19, v6
	v_and_b32_e32 v99, 0xff, v5
	v_and_b32_e32 v165, 0xffff, v118
	v_sub_nc_u16 v8, v121, v8
	v_mul_u32_u24_e32 v17, 0xcccd, v166
	v_mul_lo_u16 v10, v97, 10
	v_lshlrev_b32_e32 v9, 5, v99
	v_mul_u32_u24_e32 v25, 0xcccd, v165
	v_and_b32_e32 v100, 0xff, v8
	v_lshrrev_b32_e32 v88, 19, v17
	v_sub_nc_u16 v16, v120, v10
	s_clause 0x2
	global_load_b128 v[12:15], v9, s[4:5]
	global_load_b128 v[4:7], v4, s[4:5] offset:16
	global_load_b128 v[8:11], v9, s[4:5] offset:16
	v_lshlrev_b32_e32 v18, 5, v100
	v_and_b32_e32 v98, 0xffff, v16
	s_clause 0x1
	global_load_b128 v[20:23], v18, s[4:5]
	global_load_b128 v[16:19], v18, s[4:5] offset:16
	v_lshrrev_b32_e32 v89, 19, v25
	v_mul_lo_u16 v24, v88, 10
	v_lshlrev_b32_e32 v28, 5, v98
	v_mul_u32_u24_e32 v34, 0xcccd, v163
	v_mul_u32_u24_e32 v57, 0xcccd, v162
	v_mul_lo_u16 v32, v89, 10
	v_sub_nc_u16 v29, v119, v24
	global_load_b128 v[24:27], v28, s[4:5]
	v_lshrrev_b32_e32 v91, 19, v34
	v_mul_u32_u24_e32 v34, 0xcccd, v164
	v_sub_nc_u16 v32, v118, v32
	v_and_b32_e32 v93, 0xffff, v29
	v_lshrrev_b32_e32 v86, 19, v57
	v_mul_u32_u24_e32 v57, 0xcccd, v161
	v_lshrrev_b32_e32 v82, 19, v34
	v_and_b32_e32 v94, 0xffff, v32
	v_lshlrev_b32_e32 v33, 5, v93
	v_mul_lo_u16 v58, v86, 10
	v_lshrrev_b32_e32 v84, 19, v57
	v_lshl_add_u32 v159, v120, 4, 0
	v_lshlrev_b32_e32 v32, 5, v94
	s_clause 0x1
	global_load_b128 v[52:55], v33, s[4:5]
	global_load_b128 v[48:51], v33, s[4:5] offset:16
	v_mul_lo_u16 v33, v91, 10
	v_sub_nc_u16 v57, v115, v58
	s_clause 0x2
	global_load_b128 v[44:47], v32, s[4:5]
	global_load_b128 v[28:31], v28, s[4:5] offset:16
	global_load_b128 v[40:43], v32, s[4:5] offset:16
	v_sub_nc_u16 v33, v117, v33
	v_mul_lo_u16 v58, v84, 10
	v_and_b32_e32 v87, 0xffff, v57
	v_mad_i32_i24 v111, 0xffffff70, v110, v152
	v_mad_i32_i24 v160, 0xffffff70, v121, v151
	v_and_b32_e32 v92, 0xffff, v33
	v_mul_lo_u16 v33, v82, 10
	v_sub_nc_u16 v57, v114, v58
	v_lshlrev_b32_e32 v58, 5, v87
	v_lshlrev_b32_e32 v99, 4, v99
	v_lshlrev_b32_e32 v34, 5, v92
	v_sub_nc_u16 v32, v116, v33
	v_and_b32_e32 v85, 0xffff, v57
	v_mul_u32_u24_e32 v210, 0x1e0, v97
	v_lshlrev_b32_e32 v211, 4, v98
	global_load_b128 v[36:39], v34, s[4:5]
	v_and_b32_e32 v83, 0xffff, v32
	v_lshlrev_b32_e32 v68, 5, v85
	s_mov_b32 s2, 0xe8584caa
	s_mov_b32 s3, 0x3febb67a
	;; [unrolled: 1-line block ×3, first 2 shown]
	v_lshlrev_b32_e32 v56, 5, v83
	s_mov_b32 s6, s2
	v_lshl_add_u32 v158, v119, 4, 0
	v_lshl_add_u32 v157, v118, 4, 0
	v_cmp_gt_u32_e64 s0, 9, v108
	s_clause 0x6
	global_load_b128 v[72:75], v56, s[4:5]
	global_load_b128 v[32:35], v34, s[4:5] offset:16
	global_load_b128 v[64:67], v56, s[4:5] offset:16
	global_load_b128 v[60:63], v58, s[4:5]
	global_load_b128 v[56:59], v58, s[4:5] offset:16
	global_load_b128 v[76:79], v68, s[4:5]
	global_load_b128 v[68:71], v68, s[4:5] offset:16
	ds_load_b128 v[102:105], v150 offset:12960
	ds_load_b128 v[122:125], v150 offset:25920
	;; [unrolled: 1-line block ×4, first 2 shown]
	ds_load_b128 v[134:137], v150
	ds_load_b128 v[138:141], v150 offset:15552
	ds_load_b128 v[142:145], v150 offset:28512
	;; [unrolled: 1-line block ×7, first 2 shown]
	s_add_u32 s1, s4, 0x9740
	s_waitcnt vmcnt(19) lgkmcnt(11)
	v_mul_f64 v[106:107], v[104:105], v[2:3]
	v_mul_f64 v[2:3], v[102:103], v[2:3]
	s_waitcnt vmcnt(18) lgkmcnt(9)
	v_mul_f64 v[155:156], v[128:129], v[14:15]
	s_waitcnt vmcnt(17)
	v_mul_f64 v[153:154], v[124:125], v[6:7]
	v_mul_f64 v[6:7], v[122:123], v[6:7]
	v_mul_f64 v[14:15], v[126:127], v[14:15]
	s_waitcnt vmcnt(16) lgkmcnt(8)
	v_mul_f64 v[185:186], v[132:133], v[10:11]
	v_mul_f64 v[187:188], v[130:131], v[10:11]
	s_waitcnt vmcnt(15) lgkmcnt(6)
	v_mul_f64 v[189:190], v[140:141], v[22:23]
	s_waitcnt vmcnt(14) lgkmcnt(5)
	v_mul_f64 v[191:192], v[144:145], v[18:19]
	v_mul_f64 v[22:23], v[138:139], v[22:23]
	;; [unrolled: 1-line block ×3, first 2 shown]
	s_waitcnt vmcnt(13) lgkmcnt(3)
	v_mul_f64 v[193:194], v[171:172], v[26:27]
	v_mul_f64 v[26:27], v[169:170], v[26:27]
	v_fma_f64 v[106:107], v[102:103], v[0:1], -v[106:107]
	v_fma_f64 v[195:196], v[104:105], v[0:1], v[2:3]
	ds_load_b128 v[0:3], v150 offset:19440
	ds_load_b128 v[102:105], v150 offset:33696
	s_waitcnt vmcnt(12) lgkmcnt(3)
	v_mul_f64 v[199:200], v[179:180], v[54:55]
	v_mul_f64 v[54:55], v[177:178], v[54:55]
	s_waitcnt vmcnt(11) lgkmcnt(2)
	v_mul_f64 v[201:202], v[183:184], v[50:51]
	v_mul_f64 v[50:51], v[181:182], v[50:51]
	s_waitcnt vmcnt(9)
	v_mul_f64 v[197:198], v[175:176], v[30:31]
	v_mul_f64 v[30:31], v[173:174], v[30:31]
	v_fma_f64 v[126:127], v[126:127], v[12:13], -v[155:156]
	v_fma_f64 v[122:123], v[122:123], v[4:5], -v[153:154]
	v_fma_f64 v[124:125], v[124:125], v[4:5], v[6:7]
	ds_load_b128 v[4:7], v150 offset:32400
	v_fma_f64 v[128:129], v[128:129], v[12:13], v[14:15]
	ds_load_b128 v[10:13], v150 offset:20736
	v_fma_f64 v[130:131], v[130:131], v[8:9], -v[185:186]
	v_fma_f64 v[8:9], v[132:133], v[8:9], v[187:188]
	v_fma_f64 v[138:139], v[138:139], v[20:21], -v[189:190]
	v_fma_f64 v[140:141], v[140:141], v[20:21], v[22:23]
	v_fma_f64 v[144:145], v[144:145], v[16:17], v[18:19]
	ds_load_b128 v[18:21], v159
	s_waitcnt lgkmcnt(4)
	v_mul_f64 v[132:133], v[2:3], v[46:47]
	v_mul_f64 v[46:47], v[0:1], v[46:47]
	v_fma_f64 v[142:143], v[142:143], v[16:17], -v[191:192]
	ds_load_b128 v[14:17], v150 offset:22032
	v_fma_f64 v[169:170], v[169:170], v[24:25], -v[193:194]
	v_fma_f64 v[171:172], v[171:172], v[24:25], v[26:27]
	ds_load_b128 v[22:25], v150 offset:34992
	v_lshl_add_u32 v156, v117, 4, 0
	v_lshl_add_u32 v154, v116, 4, 0
	;; [unrolled: 1-line block ×3, first 2 shown]
	s_waitcnt vmcnt(8) lgkmcnt(4)
	v_mul_f64 v[185:186], v[6:7], v[42:43]
	v_mul_f64 v[187:188], v[4:5], v[42:43]
	s_waitcnt vmcnt(7) lgkmcnt(3)
	v_mul_f64 v[189:190], v[12:13], v[38:39]
	v_mul_f64 v[191:192], v[10:11], v[38:39]
	v_and_b32_e32 v38, 0xffff, v90
	v_and_b32_e32 v39, 0xffff, v96
	v_lshlrev_b32_e32 v43, 4, v95
	v_fma_f64 v[177:178], v[177:178], v[52:53], -v[199:200]
	v_fma_f64 v[179:180], v[179:180], v[52:53], v[54:55]
	v_and_b32_e32 v42, 0xffff, v101
	v_fma_f64 v[183:184], v[183:184], v[48:49], v[50:51]
	v_mul_u32_u24_e32 v38, 0x1e0, v38
	v_fma_f64 v[173:174], v[173:174], v[28:29], -v[197:198]
	v_fma_f64 v[175:176], v[175:176], v[28:29], v[30:31]
	ds_load_b128 v[26:29], v150 offset:23328
	s_waitcnt vmcnt(5)
	v_mul_f64 v[30:31], v[104:105], v[34:35]
	v_mul_f64 v[34:35], v[102:103], v[34:35]
	s_waitcnt lgkmcnt(2)
	v_mul_f64 v[52:53], v[16:17], v[74:75]
	v_mul_f64 v[54:55], v[14:15], v[74:75]
	v_fma_f64 v[74:75], v[181:182], v[48:49], -v[201:202]
	v_add_f64 v[95:96], v[106:107], v[122:123]
	v_add_f64 v[181:182], v[195:196], v[124:125]
	;; [unrolled: 1-line block ×4, first 2 shown]
	v_mul_u32_u24_e32 v153, 0x1e0, v42
	v_add_f64 v[197:198], v[140:141], v[144:145]
	v_add3_u32 v209, 0, v38, v43
	v_fma_f64 v[132:133], v[0:1], v[44:45], -v[132:133]
	v_fma_f64 v[193:194], v[2:3], v[44:45], v[46:47]
	v_add_f64 v[46:47], v[138:139], v[142:143]
	ds_load_b128 v[0:3], v150 offset:36288
	ds_load_b128 v[42:45], v150 offset:37584
	v_mul_u32_u24_e32 v90, 0x1e0, v39
	s_delay_alu instid0(VALU_DEP_1)
	v_add3_u32 v90, 0, v90, v99
	v_fma_f64 v[185:186], v[4:5], v[40:41], -v[185:186]
	v_fma_f64 v[187:188], v[6:7], v[40:41], v[187:188]
	ds_load_b128 v[4:7], v111
	ds_load_b128 v[38:41], v160
	v_fma_f64 v[189:190], v[10:11], v[36:37], -v[189:190]
	v_fma_f64 v[191:192], v[12:13], v[36:37], v[191:192]
	s_waitcnt vmcnt(4) lgkmcnt(5)
	v_mul_f64 v[10:11], v[24:25], v[66:67]
	v_mul_f64 v[12:13], v[22:23], v[66:67]
	s_waitcnt vmcnt(3) lgkmcnt(4)
	v_mul_f64 v[36:37], v[28:29], v[62:63]
	v_mul_f64 v[62:63], v[26:27], v[62:63]
	v_add_f64 v[207:208], v[179:180], v[183:184]
	v_fma_f64 v[101:102], v[102:103], v[32:33], -v[30:31]
	v_fma_f64 v[103:104], v[104:105], v[32:33], v[34:35]
	s_waitcnt vmcnt(2) lgkmcnt(3)
	v_mul_f64 v[30:31], v[2:3], v[58:59]
	v_mul_f64 v[32:33], v[0:1], v[58:59]
	s_waitcnt vmcnt(1)
	v_mul_f64 v[34:35], v[148:149], v[78:79]
	v_mul_f64 v[58:59], v[146:147], v[78:79]
	v_fma_f64 v[78:79], v[14:15], v[72:73], -v[52:53]
	v_fma_f64 v[72:73], v[16:17], v[72:73], v[54:55]
	s_waitcnt vmcnt(0) lgkmcnt(2)
	v_mul_f64 v[14:15], v[44:45], v[70:71]
	v_mul_f64 v[16:17], v[42:43], v[70:71]
	v_add_f64 v[52:53], v[136:137], v[195:196]
	v_add_f64 v[54:55], v[134:135], v[106:107]
	v_fma_f64 v[66:67], v[95:96], -0.5, v[134:135]
	v_fma_f64 v[70:71], v[181:182], -0.5, v[136:137]
	s_waitcnt lgkmcnt(1)
	v_add_f64 v[134:135], v[4:5], v[126:127]
	v_fma_f64 v[48:49], v[48:49], -0.5, v[4:5]
	v_add_f64 v[195:196], v[195:196], -v[124:125]
	v_lshlrev_b32_e32 v4, 4, v100
	v_add_f64 v[99:100], v[106:107], -v[122:123]
	s_waitcnt lgkmcnt(0)
	v_add_f64 v[136:137], v[40:41], v[140:141]
	v_fma_f64 v[40:41], v[197:198], -0.5, v[40:41]
	v_add_f64 v[197:198], v[171:172], v[175:176]
	v_add_f64 v[95:96], v[6:7], v[128:129]
	v_fma_f64 v[50:51], v[50:51], -0.5, v[6:7]
	v_add_f64 v[105:106], v[128:129], -v[8:9]
	v_add_f64 v[126:127], v[126:127], -v[130:131]
	v_add_f64 v[181:182], v[38:39], v[138:139]
	v_fma_f64 v[38:39], v[46:47], -0.5, v[38:39]
	v_add_f64 v[128:129], v[140:141], -v[144:145]
	v_add_f64 v[138:139], v[138:139], -v[142:143]
	v_add_f64 v[46:47], v[169:170], v[173:174]
	v_fma_f64 v[97:98], v[22:23], v[64:65], -v[10:11]
	v_fma_f64 v[140:141], v[24:25], v[64:65], v[12:13]
	v_fma_f64 v[199:200], v[26:27], v[60:61], -v[36:37]
	v_fma_f64 v[201:202], v[28:29], v[60:61], v[62:63]
	v_add_f64 v[60:61], v[177:178], v[74:75]
	v_add_f64 v[64:65], v[18:19], v[169:170]
	;; [unrolled: 1-line block ×3, first 2 shown]
	v_add3_u32 v107, 0, v153, v4
	v_add_f64 v[171:172], v[171:172], -v[175:176]
	v_fma_f64 v[203:204], v[0:1], v[56:57], -v[30:31]
	v_fma_f64 v[205:206], v[2:3], v[56:57], v[32:33]
	v_fma_f64 v[146:147], v[146:147], v[76:77], -v[34:35]
	v_fma_f64 v[76:77], v[148:149], v[76:77], v[58:59]
	v_add_f64 v[169:170], v[169:170], -v[173:174]
	v_lshl_add_u32 v153, v114, 4, 0
	v_fma_f64 v[148:149], v[42:43], v[68:69], -v[14:15]
	v_fma_f64 v[68:69], v[44:45], v[68:69], v[16:17]
	v_add_f64 v[2:3], v[52:53], v[124:125]
	v_add_f64 v[0:1], v[54:55], v[122:123]
	;; [unrolled: 1-line block ×4, first 2 shown]
	v_fma_f64 v[12:13], v[195:196], s[2:3], v[66:67]
	v_fma_f64 v[14:15], v[99:100], s[6:7], v[70:71]
	;; [unrolled: 1-line block ×3, first 2 shown]
	v_add_f64 v[10:11], v[136:137], v[144:145]
	v_fma_f64 v[122:123], v[197:198], -0.5, v[20:21]
	v_fma_f64 v[20:21], v[195:196], s[6:7], v[66:67]
	v_add_f64 v[6:7], v[95:96], v[8:9]
	v_fma_f64 v[24:25], v[105:106], s[2:3], v[48:49]
	v_fma_f64 v[26:27], v[126:127], s[6:7], v[50:51]
	;; [unrolled: 1-line block ×4, first 2 shown]
	v_add_f64 v[8:9], v[181:182], v[142:143]
	v_fma_f64 v[32:33], v[128:129], s[2:3], v[38:39]
	v_fma_f64 v[34:35], v[138:139], s[6:7], v[40:41]
	;; [unrolled: 1-line block ×4, first 2 shown]
	v_fma_f64 v[95:96], v[46:47], -0.5, v[18:19]
	ds_load_b128 v[16:19], v158
	ds_load_b128 v[40:43], v157
	v_add_f64 v[70:71], v[132:133], v[185:186]
	v_add_f64 v[99:100], v[193:194], v[187:188]
	;; [unrolled: 1-line block ×5, first 2 shown]
	v_add_f64 v[128:129], v[179:180], -v[183:184]
	v_add_f64 v[138:139], v[199:200], v[203:204]
	v_add_f64 v[142:143], v[201:202], v[205:206]
	ds_load_b128 v[44:47], v156
	ds_load_b128 v[48:51], v154
	;; [unrolled: 1-line block ×4, first 2 shown]
	s_waitcnt lgkmcnt(0)
	v_add_f64 v[144:145], v[146:147], v[148:149]
	s_barrier
	buffer_gl0_inv
	ds_store_b128 v209, v[0:3]
	ds_store_b128 v209, v[12:15] offset:160
	ds_store_b128 v209, v[20:23] offset:320
	ds_store_b128 v90, v[4:7]
	ds_store_b128 v90, v[24:27] offset:160
	ds_store_b128 v90, v[28:31] offset:320
	;; [unrolled: 3-line block ×3, first 2 shown]
	v_add_f64 v[105:106], v[18:19], v[179:180]
	v_add_f64 v[124:125], v[16:17], v[177:178]
	;; [unrolled: 1-line block ×3, first 2 shown]
	v_fma_f64 v[181:182], v[60:61], -0.5, v[16:17]
	v_add_f64 v[60:61], v[64:65], v[173:174]
	v_fma_f64 v[173:174], v[207:208], -0.5, v[18:19]
	v_add_f64 v[10:11], v[177:178], -v[74:75]
	v_add_f64 v[62:63], v[62:63], v[175:176]
	v_add_f64 v[12:13], v[42:43], v[193:194]
	v_add_f64 v[20:21], v[40:41], v[132:133]
	v_add_f64 v[32:33], v[46:47], v[191:192]
	v_add_f64 v[34:35], v[44:45], v[189:190]
	v_fma_f64 v[16:17], v[171:172], s[2:3], v[95:96]
	v_fma_f64 v[18:19], v[169:170], s[6:7], v[122:123]
	v_fma_f64 v[22:23], v[70:71], -0.5, v[40:41]
	v_add_f64 v[24:25], v[193:194], -v[187:188]
	v_fma_f64 v[26:27], v[99:100], -0.5, v[42:43]
	v_add_f64 v[28:29], v[132:133], -v[185:186]
	;; [unrolled: 2-line block ×4, first 2 shown]
	v_fma_f64 v[64:65], v[171:172], s[6:7], v[95:96]
	v_fma_f64 v[66:67], v[169:170], s[2:3], v[122:123]
	v_add_f64 v[44:45], v[50:51], v[72:73]
	v_add_f64 v[46:47], v[48:49], v[78:79]
	v_fma_f64 v[42:43], v[134:135], -0.5, v[48:49]
	v_add_f64 v[48:49], v[72:73], -v[140:141]
	v_fma_f64 v[50:51], v[136:137], -0.5, v[50:51]
	v_add_f64 v[70:71], v[78:79], -v[97:98]
	v_fma_f64 v[72:73], v[138:139], -0.5, v[52:53]
	v_add_f64 v[52:53], v[52:53], v[199:200]
	v_add_f64 v[78:79], v[201:202], -v[205:206]
	v_fma_f64 v[95:96], v[142:143], -0.5, v[54:55]
	v_add_f64 v[99:100], v[199:200], -v[203:204]
	v_add_f64 v[130:131], v[146:147], -v[148:149]
	v_add_f64 v[122:123], v[56:57], v[146:147]
	v_add3_u32 v90, 0, v210, v211
	v_add_f64 v[2:3], v[105:106], v[183:184]
	v_add_f64 v[0:1], v[124:125], v[74:75]
	;; [unrolled: 1-line block ×4, first 2 shown]
	v_fma_f64 v[124:125], v[144:145], -0.5, v[56:57]
	v_fma_f64 v[126:127], v[179:180], -0.5, v[58:59]
	v_add_f64 v[76:77], v[76:77], -v[68:69]
	v_fma_f64 v[4:5], v[128:129], s[2:3], v[181:182]
	v_fma_f64 v[6:7], v[10:11], s[6:7], v[173:174]
	;; [unrolled: 1-line block ×4, first 2 shown]
	v_mul_u32_u24_e32 v14, 0x1e0, v88
	v_lshlrev_b32_e32 v15, 4, v93
	ds_store_b128 v90, v[60:63]
	ds_store_b128 v90, v[16:19] offset:160
	ds_store_b128 v90, v[64:67] offset:320
	v_add3_u32 v88, 0, v14, v15
	v_add_f64 v[14:15], v[12:13], v[187:188]
	v_add_f64 v[12:13], v[20:21], v[185:186]
	;; [unrolled: 1-line block ×4, first 2 shown]
	v_fma_f64 v[20:21], v[24:25], s[2:3], v[22:23]
	v_fma_f64 v[24:25], v[24:25], s[6:7], v[22:23]
	;; [unrolled: 1-line block ×8, first 2 shown]
	v_add_f64 v[38:39], v[44:45], v[140:141]
	v_add_f64 v[36:37], v[46:47], v[97:98]
	v_fma_f64 v[40:41], v[48:49], s[2:3], v[42:43]
	v_fma_f64 v[44:45], v[48:49], s[6:7], v[42:43]
	;; [unrolled: 1-line block ×4, first 2 shown]
	v_add_f64 v[50:51], v[74:75], v[205:206]
	v_add_f64 v[48:49], v[52:53], v[203:204]
	v_fma_f64 v[56:57], v[78:79], s[6:7], v[72:73]
	v_fma_f64 v[58:59], v[99:100], s[2:3], v[95:96]
	v_add_f64 v[62:63], v[105:106], v[68:69]
	v_fma_f64 v[68:69], v[76:77], s[6:7], v[124:125]
	v_fma_f64 v[70:71], v[130:131], s[2:3], v[126:127]
	;; [unrolled: 1-line block ×4, first 2 shown]
	v_add_f64 v[60:61], v[122:123], v[148:149]
	v_fma_f64 v[64:65], v[76:77], s[2:3], v[124:125]
	v_fma_f64 v[66:67], v[130:131], s[6:7], v[126:127]
	v_mul_u32_u24_e32 v72, 0x1e0, v89
	v_lshlrev_b32_e32 v73, 4, v94
	ds_store_b128 v88, v[0:3]
	ds_store_b128 v88, v[4:7] offset:160
	ds_store_b128 v88, v[8:11] offset:320
	v_mul_u32_u24_e32 v0, 0x1e0, v91
	v_lshlrev_b32_e32 v1, 4, v92
	v_mul_lo_u16 v2, 0x89, v80
	v_add3_u32 v72, 0, v72, v73
	ds_store_b128 v72, v[12:15]
	ds_store_b128 v72, v[20:23] offset:160
	ds_store_b128 v72, v[24:27] offset:320
	v_add3_u32 v0, 0, v0, v1
	v_lshrrev_b16 v171, 12, v2
	v_mul_u32_u24_e32 v1, 0x1e0, v82
	v_lshlrev_b32_e32 v3, 4, v83
	ds_store_b128 v0, v[16:19]
	ds_store_b128 v0, v[28:31] offset:160
	ds_store_b128 v0, v[32:35] offset:320
	v_mul_lo_u16 v0, v171, 30
	v_mul_u32_u24_e32 v4, 0x1e0, v86
	v_lshlrev_b32_e32 v2, 4, v87
	v_add3_u32 v1, 0, v1, v3
	v_mul_u32_u24_e32 v3, 0x1e0, v84
	v_sub_nc_u16 v0, v108, v0
	ds_store_b128 v1, v[36:39]
	ds_store_b128 v1, v[40:43] offset:160
	ds_store_b128 v1, v[44:47] offset:320
	v_add3_u32 v2, 0, v4, v2
	v_lshlrev_b32_e32 v4, 4, v85
	v_mul_lo_u16 v1, 0x89, v81
	v_and_b32_e32 v169, 0xff, v0
	ds_store_b128 v2, v[48:51]
	ds_store_b128 v2, v[52:55] offset:160
	v_add3_u32 v3, 0, v3, v4
	v_lshrrev_b16 v173, 12, v1
	v_lshlrev_b32_e32 v0, 5, v169
	ds_store_b128 v2, v[56:59] offset:320
	ds_store_b128 v3, v[60:63]
	ds_store_b128 v3, v[64:67] offset:160
	ds_store_b128 v3, v[68:71] offset:320
	v_mul_lo_u16 v1, v173, 30
	s_waitcnt lgkmcnt(0)
	s_barrier
	buffer_gl0_inv
	s_clause 0x1
	global_load_b128 v[56:59], v0, s[4:5] offset:320
	global_load_b128 v[52:55], v0, s[4:5] offset:336
	v_sub_nc_u16 v1, v110, v1
	v_mul_lo_u16 v2, 0x89, v167
	v_mul_u32_u24_e32 v6, 0x8889, v164
	v_mul_u32_u24_e32 v13, 0x8889, v162
	v_and_b32_e32 v171, 0xffff, v171
	v_and_b32_e32 v170, 0xff, v1
	v_lshrrev_b16 v175, 12, v2
	v_mul_u32_u24_e32 v2, 0x8889, v168
	v_lshrrev_b32_e32 v177, 20, v6
	v_lshrrev_b32_e32 v182, 20, v13
	v_lshlrev_b32_e32 v1, 5, v170
	v_mul_lo_u16 v0, v175, 30
	v_lshrrev_b32_e32 v179, 20, v2
	v_and_b32_e32 v175, 0xffff, v175
	v_mul_lo_u16 v26, v182, 30
	s_clause 0x1
	global_load_b128 v[64:67], v1, s[4:5] offset:320
	global_load_b128 v[60:63], v1, s[4:5] offset:336
	v_sub_nc_u16 v0, v121, v0
	v_mul_u32_u24_e32 v1, 0x8889, v166
	v_lshlrev_b32_e32 v169, 4, v169
	v_and_b32_e32 v173, 0xffff, v173
	v_mul_u32_u24_e32 v217, 0x5a0, v177
	v_and_b32_e32 v172, 0xff, v0
	v_mul_lo_u16 v0, v179, 30
	v_lshrrev_b32_e32 v184, 20, v1
	v_mul_u32_u24_e32 v1, 0x8889, v165
	v_mul_u32_u24_e32 v179, 0x5a0, v179
	v_lshlrev_b32_e32 v2, 5, v172
	v_sub_nc_u16 v0, v120, v0
	v_mul_u32_u24_e32 v173, 0x5a0, v173
	v_lshrrev_b32_e32 v183, 20, v1
	v_mul_u32_u24_e32 v218, 0x5a0, v182
	s_clause 0x1
	global_load_b128 v[72:75], v2, s[4:5] offset:320
	global_load_b128 v[68:71], v2, s[4:5] offset:336
	v_and_b32_e32 v176, 0xffff, v0
	v_mul_lo_u16 v0, v184, 30
	v_mul_lo_u16 v4, v183, 30
	v_mul_u32_u24_e32 v209, 0x5a0, v183
	v_mul_u32_u24_e32 v183, 0x5a0, v175
	v_lshlrev_b32_e32 v2, 5, v176
	v_sub_nc_u16 v0, v119, v0
	v_sub_nc_u16 v4, v118, v4
	v_mul_u32_u24_e32 v184, 0x5a0, v184
	global_load_b128 v[76:79], v2, s[4:5] offset:320
	v_and_b32_e32 v180, 0xffff, v0
	v_and_b32_e32 v185, 0xffff, v4
	v_mul_u32_u24_e32 v4, 0x8889, v163
	s_delay_alu instid0(VALU_DEP_3) | instskip(NEXT) | instid1(VALU_DEP_2)
	v_lshlrev_b32_e32 v5, 5, v180
	v_lshrrev_b32_e32 v174, 20, v4
	s_clause 0x2
	global_load_b128 v[20:23], v5, s[4:5] offset:320
	global_load_b128 v[0:3], v2, s[4:5] offset:336
	;; [unrolled: 1-line block ×3, first 2 shown]
	v_mul_lo_u16 v4, v174, 30
	v_mul_u32_u24_e32 v216, 0x5a0, v174
	s_delay_alu instid0(VALU_DEP_2) | instskip(NEXT) | instid1(VALU_DEP_1)
	v_sub_nc_u16 v12, v117, v4
	v_and_b32_e32 v178, 0xffff, v12
	v_mul_lo_u16 v12, v177, 30
	s_delay_alu instid0(VALU_DEP_2) | instskip(NEXT) | instid1(VALU_DEP_2)
	v_lshlrev_b32_e32 v24, 5, v178
	v_sub_nc_u16 v25, v116, v12
	v_lshlrev_b32_e32 v220, 4, v178
	global_load_b128 v[12:15], v24, s[4:5] offset:320
	v_lshlrev_b32_e32 v5, 5, v185
	v_and_b32_e32 v181, 0xffff, v25
	global_load_b128 v[40:43], v24, s[4:5] offset:336
	v_mul_u32_u24_e32 v25, 0x8889, v161
	v_lshlrev_b32_e32 v185, 4, v185
	s_clause 0x1
	global_load_b128 v[8:11], v5, s[4:5] offset:320
	global_load_b128 v[4:7], v5, s[4:5] offset:336
	v_lshlrev_b32_e32 v24, 5, v181
	v_lshrrev_b32_e32 v186, 20, v25
	v_sub_nc_u16 v25, v115, v26
	v_add3_u32 v209, 0, v209, v185
	v_lshlrev_b32_e32 v221, 4, v181
	s_clause 0x1
	global_load_b128 v[44:47], v24, s[4:5] offset:320
	global_load_b128 v[36:39], v24, s[4:5] offset:336
	v_mul_lo_u16 v26, v186, 30
	v_and_b32_e32 v187, 0xffff, v25
	v_mul_u32_u24_e32 v219, 0x5a0, v186
	s_delay_alu instid0(VALU_DEP_3) | instskip(NEXT) | instid1(VALU_DEP_3)
	v_sub_nc_u16 v24, v114, v26
	v_lshlrev_b32_e32 v25, 5, v187
	s_clause 0x1
	global_load_b128 v[32:35], v25, s[4:5] offset:320
	global_load_b128 v[28:31], v25, s[4:5] offset:336
	v_and_b32_e32 v188, 0xffff, v24
	v_lshlrev_b32_e32 v222, 4, v187
	s_delay_alu instid0(VALU_DEP_2)
	v_lshlrev_b32_e32 v48, 5, v188
	s_clause 0x1
	global_load_b128 v[24:27], v48, s[4:5] offset:320
	global_load_b128 v[48:51], v48, s[4:5] offset:336
	ds_load_b128 v[96:99], v150 offset:12960
	ds_load_b128 v[88:91], v150 offset:25920
	;; [unrolled: 1-line block ×3, first 2 shown]
	ds_load_b128 v[80:83], v150
	ds_load_b128 v[130:133], v150 offset:27216
	ds_load_b128 v[84:87], v150 offset:24624
	;; [unrolled: 1-line block ×7, first 2 shown]
	v_lshlrev_b32_e32 v223, 4, v188
	s_waitcnt vmcnt(19) lgkmcnt(10)
	v_mul_f64 v[122:123], v[98:99], v[58:59]
	v_mul_f64 v[58:59], v[96:97], v[58:59]
	s_waitcnt vmcnt(18) lgkmcnt(9)
	v_mul_f64 v[126:127], v[90:91], v[54:55]
	v_mul_f64 v[54:55], v[88:89], v[54:55]
	;; [unrolled: 3-line block ×6, first 2 shown]
	v_fma_f64 v[122:123], v[96:97], v[56:57], -v[122:123]
	v_fma_f64 v[124:125], v[98:99], v[56:57], v[58:59]
	ds_load_b128 v[96:99], v150 offset:31104
	v_fma_f64 v[74:75], v[88:89], v[52:53], -v[126:127]
	ds_load_b128 v[56:59], v150 offset:20736
	s_waitcnt vmcnt(13) lgkmcnt(4)
	v_mul_f64 v[203:204], v[195:196], v[78:79]
	v_mul_f64 v[205:206], v[193:194], v[78:79]
	v_fma_f64 v[78:79], v[90:91], v[52:53], v[54:55]
	ds_load_b128 v[88:91], v150 offset:19440
	ds_load_b128 v[52:55], v159
	v_fma_f64 v[126:127], v[92:93], v[64:65], -v[128:129]
	v_fma_f64 v[128:129], v[94:95], v[64:65], v[66:67]
	ds_load_b128 v[64:67], v150 offset:32400
	s_waitcnt vmcnt(11) lgkmcnt(6)
	v_mul_f64 v[146:147], v[106:107], v[2:3]
	v_mul_f64 v[148:149], v[104:105], v[2:3]
	s_waitcnt vmcnt(10) lgkmcnt(4)
	v_mul_f64 v[138:139], v[98:99], v[18:19]
	v_fma_f64 v[2:3], v[130:131], v[60:61], -v[140:141]
	v_mul_f64 v[140:141], v[96:97], v[18:19]
	v_mul_f64 v[142:143], v[102:103], v[22:23]
	;; [unrolled: 1-line block ×3, first 2 shown]
	v_fma_f64 v[22:23], v[132:133], v[60:61], v[62:63]
	ds_load_b128 v[60:63], v150 offset:33696
	v_lshlrev_b32_e32 v92, 1, v108
	v_fma_f64 v[18:19], v[134:135], v[72:73], -v[197:198]
	v_fma_f64 v[72:73], v[136:137], v[72:73], v[199:200]
	v_fma_f64 v[93:94], v[191:192], v[68:69], v[70:71]
	s_waitcnt vmcnt(6) lgkmcnt(1)
	v_mul_f64 v[134:135], v[66:67], v[6:7]
	v_mul_f64 v[136:137], v[64:65], v[6:7]
	v_fma_f64 v[6:7], v[193:194], v[76:77], -v[203:204]
	v_fma_f64 v[76:77], v[195:196], v[76:77], v[205:206]
	v_fma_f64 v[146:147], v[104:105], v[0:1], -v[146:147]
	v_fma_f64 v[0:1], v[106:107], v[0:1], v[148:149]
	ds_load_b128 v[104:107], v150 offset:23328
	v_mul_f64 v[148:149], v[58:59], v[14:15]
	v_mul_f64 v[193:194], v[56:57], v[14:15]
	v_fma_f64 v[95:96], v[96:97], v[16:17], -v[138:139]
	v_fma_f64 v[97:98], v[98:99], v[16:17], v[140:141]
	ds_load_b128 v[14:17], v150 offset:37584
	v_mul_f64 v[130:131], v[90:91], v[10:11]
	v_mul_f64 v[132:133], v[88:89], v[10:11]
	v_fma_f64 v[10:11], v[189:190], v[68:69], -v[201:202]
	ds_load_b128 v[68:71], v150 offset:22032
	ds_load_b128 v[189:192], v150 offset:34992
	v_fma_f64 v[142:143], v[100:101], v[20:21], -v[142:143]
	v_fma_f64 v[20:21], v[102:103], v[20:21], v[144:145]
	ds_load_b128 v[100:103], v150 offset:36288
	v_mul_u32_u24_e32 v99, 0x5a0, v171
	v_add_f64 v[197:198], v[72:73], v[93:94]
	s_delay_alu instid0(VALU_DEP_2)
	v_add3_u32 v210, 0, v99, v169
	s_waitcnt vmcnt(5) lgkmcnt(2)
	v_mul_f64 v[138:139], v[70:71], v[46:47]
	v_mul_f64 v[46:47], v[68:69], v[46:47]
	s_waitcnt vmcnt(4) lgkmcnt(1)
	v_mul_f64 v[140:141], v[191:192], v[38:39]
	v_mul_f64 v[38:39], v[189:190], v[38:39]
	v_add_f64 v[201:202], v[54:55], v[76:77]
	v_add_f64 v[203:204], v[52:53], v[6:7]
	v_fma_f64 v[148:149], v[56:57], v[12:13], -v[148:149]
	v_fma_f64 v[88:89], v[88:89], v[8:9], -v[130:131]
	v_fma_f64 v[8:9], v[90:91], v[8:9], v[132:133]
	v_fma_f64 v[132:133], v[64:65], v[4:5], -v[134:135]
	v_lshlrev_b32_e32 v64, 4, v176
	v_fma_f64 v[175:176], v[58:59], v[12:13], v[193:194]
	ds_load_b128 v[56:59], v111
	v_mul_f64 v[144:145], v[62:63], v[42:43]
	v_mul_f64 v[42:43], v[60:61], v[42:43]
	s_waitcnt vmcnt(3)
	v_mul_f64 v[90:91], v[106:107], v[34:35]
	v_mul_f64 v[130:131], v[104:105], v[34:35]
	v_fma_f64 v[134:135], v[66:67], v[4:5], v[136:137]
	v_lshlrev_b32_e32 v34, 4, v170
	s_waitcnt vmcnt(1)
	v_mul_f64 v[136:137], v[86:87], v[26:27]
	v_mul_f64 v[169:170], v[84:85], v[26:27]
	v_lshlrev_b32_e32 v35, 4, v172
	v_lshlrev_b32_e32 v65, 4, v180
	s_waitcnt lgkmcnt(1)
	v_mul_f64 v[4:5], v[102:103], v[30:31]
	v_mul_f64 v[30:31], v[100:101], v[30:31]
	s_waitcnt vmcnt(0)
	v_mul_f64 v[171:172], v[16:17], v[50:51]
	v_mul_f64 v[12:13], v[14:15], v[50:51]
	v_add3_u32 v212, 0, v183, v35
	v_add3_u32 v213, 0, v179, v64
	;; [unrolled: 1-line block ×3, first 2 shown]
	v_add_f64 v[179:180], v[124:125], v[78:79]
	v_fma_f64 v[46:47], v[70:71], v[44:45], v[46:47]
	v_fma_f64 v[70:71], v[189:190], v[36:37], -v[140:141]
	v_add_f64 v[140:141], v[82:83], v[124:125]
	v_add_f64 v[183:184], v[80:81], v[122:123]
	;; [unrolled: 1-line block ×3, first 2 shown]
	ds_load_b128 v[64:67], v160
	v_add3_u32 v211, 0, v173, v34
	v_fma_f64 v[189:190], v[191:192], v[36:37], v[38:39]
	v_fma_f64 v[68:69], v[68:69], v[44:45], -v[138:139]
	v_add_f64 v[138:139], v[122:123], v[74:75]
	v_add_f64 v[191:192], v[126:127], v[2:3]
	s_waitcnt lgkmcnt(1)
	v_add_f64 v[195:196], v[56:57], v[126:127]
	v_add_f64 v[122:123], v[122:123], -v[74:75]
	v_add_f64 v[124:125], v[124:125], -v[78:79]
	v_add_f64 v[205:206], v[142:143], v[95:96]
	v_add_f64 v[126:127], v[126:127], -v[2:3]
	v_fma_f64 v[50:51], v[60:61], v[40:41], -v[144:145]
	v_fma_f64 v[144:145], v[62:63], v[40:41], v[42:43]
	ds_load_b128 v[34:37], v158
	ds_load_b128 v[38:41], v157
	v_fma_f64 v[90:91], v[104:105], v[32:33], -v[90:91]
	v_add_f64 v[104:105], v[58:59], v[128:129]
	v_fma_f64 v[106:107], v[106:107], v[32:33], v[130:131]
	v_add_f64 v[130:131], v[18:19], v[10:11]
	v_fma_f64 v[84:85], v[84:85], v[24:25], -v[136:137]
	s_waitcnt lgkmcnt(2)
	v_add_f64 v[199:200], v[64:65], v[18:19]
	v_fma_f64 v[24:25], v[86:87], v[24:25], v[169:170]
	v_add_f64 v[169:170], v[6:7], v[146:147]
	v_fma_f64 v[99:100], v[100:101], v[28:29], -v[4:5]
	v_fma_f64 v[101:102], v[102:103], v[28:29], v[30:31]
	v_add_f64 v[136:137], v[66:67], v[72:73]
	v_fma_f64 v[86:87], v[14:15], v[48:49], -v[171:172]
	v_fma_f64 v[48:49], v[16:17], v[48:49], v[12:13]
	v_add_f64 v[171:172], v[76:77], v[0:1]
	v_fma_f64 v[82:83], v[179:180], -0.5, v[82:83]
	ds_load_b128 v[26:29], v156
	ds_load_b128 v[30:33], v154
	;; [unrolled: 1-line block ×4, first 2 shown]
	v_add_f64 v[14:15], v[140:141], v[78:79]
	s_waitcnt lgkmcnt(5)
	v_add_f64 v[179:180], v[36:37], v[20:21]
	v_add_f64 v[12:13], v[183:184], v[74:75]
	;; [unrolled: 1-line block ×3, first 2 shown]
	v_fma_f64 v[140:141], v[193:194], -0.5, v[58:59]
	v_add_f64 v[58:59], v[8:9], v[134:135]
	v_add_f64 v[78:79], v[88:89], v[132:133]
	v_fma_f64 v[80:81], v[138:139], -0.5, v[80:81]
	v_add_f64 v[138:139], v[20:21], v[97:98]
	s_waitcnt lgkmcnt(4)
	v_add_f64 v[183:184], v[40:41], v[8:9]
	v_fma_f64 v[56:57], v[191:192], -0.5, v[56:57]
	v_add_f64 v[191:192], v[18:19], -v[10:11]
	v_add_f64 v[207:208], v[68:69], v[70:71]
	v_add_f64 v[2:3], v[195:196], v[2:3]
	v_add_f64 v[76:77], v[76:77], -v[0:1]
	v_add_f64 v[128:129], v[128:129], -v[22:23]
	;; [unrolled: 1-line block ×3, first 2 shown]
	s_waitcnt lgkmcnt(3)
	v_add_f64 v[195:196], v[28:29], v[175:176]
	v_add_f64 v[193:194], v[148:149], v[50:51]
	v_add_f64 v[142:143], v[142:143], -v[95:96]
	v_add_f64 v[173:174], v[46:47], -v[189:190]
	s_waitcnt lgkmcnt(0)
	v_add_f64 v[4:5], v[104:105], v[22:23]
	v_add_f64 v[103:104], v[38:39], v[88:89]
	v_fma_f64 v[64:65], v[130:131], -0.5, v[64:65]
	v_fma_f64 v[130:131], v[197:198], -0.5, v[66:67]
	v_add_f64 v[66:67], v[175:176], v[144:145]
	v_add_f64 v[16:17], v[199:200], v[10:11]
	;; [unrolled: 1-line block ×3, first 2 shown]
	v_fma_f64 v[169:170], v[169:170], -0.5, v[52:53]
	v_add_f64 v[52:53], v[46:47], v[189:190]
	v_add_f64 v[18:19], v[136:137], v[93:94]
	v_add_f64 v[136:137], v[6:7], -v[146:147]
	v_add_f64 v[199:200], v[8:9], -v[134:135]
	v_add_f64 v[8:9], v[201:202], v[0:1]
	v_add_f64 v[6:7], v[203:204], v[146:147]
	;; [unrolled: 1-line block ×5, first 2 shown]
	v_add_f64 v[197:198], v[20:21], -v[97:98]
	v_fma_f64 v[171:172], v[171:172], -0.5, v[54:55]
	v_add_f64 v[54:55], v[32:33], v[46:47]
	v_add_f64 v[22:23], v[179:180], v[97:98]
	;; [unrolled: 1-line block ×4, first 2 shown]
	v_fma_f64 v[179:180], v[58:59], -0.5, v[40:41]
	v_add_f64 v[58:59], v[24:25], v[48:49]
	v_fma_f64 v[96:97], v[78:79], -0.5, v[38:39]
	v_add_f64 v[78:79], v[62:63], v[24:25]
	v_add_f64 v[74:75], v[42:43], v[90:91]
	v_fma_f64 v[201:202], v[205:206], -0.5, v[34:35]
	v_fma_f64 v[138:139], v[138:139], -0.5, v[36:37]
	v_add_f64 v[205:206], v[44:45], v[106:107]
	v_add_f64 v[36:37], v[183:184], v[134:135]
	v_add_f64 v[134:135], v[175:176], -v[144:145]
	v_add_f64 v[148:149], v[148:149], -v[50:51]
	v_fma_f64 v[185:186], v[193:194], -0.5, v[26:27]
	v_add_f64 v[175:176], v[68:69], -v[70:71]
	v_add_f64 v[177:178], v[24:25], -v[48:49]
	;; [unrolled: 1-line block ×4, first 2 shown]
	v_add_f64 v[34:35], v[103:104], v[132:133]
	v_add_f64 v[103:104], v[60:61], v[84:85]
	v_add_f64 v[132:133], v[88:89], -v[132:133]
	v_fma_f64 v[187:188], v[66:67], -0.5, v[28:29]
	v_add_f64 v[26:27], v[195:196], v[144:145]
	v_add_f64 v[24:25], v[10:11], v[50:51]
	v_fma_f64 v[10:11], v[207:208], -0.5, v[30:31]
	v_fma_f64 v[32:33], v[52:53], -0.5, v[32:33]
	v_add_f64 v[181:182], v[84:85], -v[86:87]
	v_fma_f64 v[46:47], v[124:125], s[2:3], v[80:81]
	v_fma_f64 v[50:51], v[124:125], s[6:7], v[80:81]
	;; [unrolled: 1-line block ×4, first 2 shown]
	v_add_f64 v[28:29], v[0:1], v[70:71]
	v_fma_f64 v[0:1], v[146:147], -0.5, v[42:43]
	v_fma_f64 v[144:145], v[203:204], -0.5, v[44:45]
	v_fma_f64 v[68:69], v[191:192], s[2:3], v[130:131]
	v_fma_f64 v[70:71], v[76:77], s[2:3], v[169:170]
	v_add_f64 v[30:31], v[54:55], v[189:190]
	v_fma_f64 v[54:55], v[128:129], s[2:3], v[56:57]
	s_barrier
	v_fma_f64 v[146:147], v[94:95], -0.5, v[60:61]
	v_fma_f64 v[60:61], v[126:127], s[2:3], v[140:141]
	v_fma_f64 v[189:190], v[58:59], -0.5, v[62:63]
	v_fma_f64 v[58:59], v[128:129], s[6:7], v[56:57]
	v_add_f64 v[44:45], v[78:79], v[48:49]
	v_fma_f64 v[48:49], v[122:123], s[6:7], v[82:83]
	v_fma_f64 v[56:57], v[126:127], s[6:7], v[140:141]
	;; [unrolled: 1-line block ×5, first 2 shown]
	v_add_f64 v[38:39], v[74:75], v[99:100]
	v_fma_f64 v[74:75], v[76:77], s[6:7], v[169:170]
	v_fma_f64 v[76:77], v[136:137], s[2:3], v[171:172]
	;; [unrolled: 1-line block ×7, first 2 shown]
	v_add_f64 v[42:43], v[103:104], v[86:87]
	v_fma_f64 v[86:87], v[199:200], s[2:3], v[96:97]
	v_fma_f64 v[88:89], v[132:133], s[6:7], v[179:180]
	;; [unrolled: 1-line block ×3, first 2 shown]
	v_add_f64 v[40:41], v[205:206], v[101:102]
	v_fma_f64 v[98:99], v[134:135], s[2:3], v[185:186]
	v_fma_f64 v[100:101], v[148:149], s[6:7], v[187:188]
	;; [unrolled: 1-line block ×12, first 2 shown]
	v_add3_u32 v0, 0, v216, v220
	v_add3_u32 v1, 0, v217, v221
	;; [unrolled: 1-line block ×3, first 2 shown]
	v_fma_f64 v[138:139], v[177:178], s[2:3], v[146:147]
	v_fma_f64 v[142:143], v[177:178], s[6:7], v[146:147]
	;; [unrolled: 1-line block ×4, first 2 shown]
	v_add3_u32 v11, 0, v219, v223
	buffer_gl0_inv
	ds_store_b128 v210, v[12:15]
	ds_store_b128 v210, v[46:49] offset:480
	ds_store_b128 v210, v[50:53] offset:960
	ds_store_b128 v211, v[2:5]
	ds_store_b128 v211, v[54:57] offset:480
	ds_store_b128 v211, v[58:61] offset:960
	;; [unrolled: 3-line block ×9, first 2 shown]
	ds_store_b128 v11, v[42:45]
	ds_store_b128 v11, v[138:141] offset:480
	v_mul_lo_u16 v2, 0xb7, v167
	v_mov_b32_e32 v93, 0
	v_cndmask_b32_e64 v103, v215, v110, s0
	v_mul_u32_u24_e32 v49, 0x2d83, v164
	v_mul_u32_u24_e32 v56, 0x2d83, v162
	v_lshrrev_b16 v101, 14, v2
	v_mul_u32_u24_e32 v2, 0x2d83, v168
	v_lshlrev_b64 v[183:184], 4, v[92:93]
	v_lshrrev_b32_e32 v124, 20, v49
	v_lshrrev_b32_e32 v125, 20, v56
	v_mul_lo_u16 v3, 0x5a, v101
	v_lshrrev_b32_e32 v104, 20, v2
	v_mov_b32_e32 v1, v93
	v_add_co_u32 v94, s0, s4, v183
	s_delay_alu instid0(VALU_DEP_4) | instskip(NEXT) | instid1(VALU_DEP_4)
	v_sub_nc_u16 v2, v121, v3
	v_mul_lo_u16 v4, 0x5a, v104
	v_add_co_ci_u32_e64 v95, s0, s5, v184, s0
	v_mul_lo_u16 v58, 0x5a, v125
	s_delay_alu instid0(VALU_DEP_4) | instskip(NEXT) | instid1(VALU_DEP_4)
	v_and_b32_e32 v100, 0xff, v2
	v_sub_nc_u16 v4, v120, v4
	v_lshlrev_b32_e32 v0, 1, v103
	v_mul_u32_u24_e32 v57, 0x2d83, v161
	v_sub_nc_u16 v58, v115, v58
	v_lshlrev_b32_e32 v12, 5, v100
	v_and_b32_e32 v96, 0xffff, v4
	v_lshlrev_b64 v[0:1], 4, v[0:1]
	ds_store_b128 v11, v[142:145] offset:960
	s_waitcnt lgkmcnt(0)
	s_barrier
	buffer_gl0_inv
	s_clause 0x1
	global_load_b128 v[4:7], v12, s[4:5] offset:1280
	global_load_b128 v[20:23], v12, s[4:5] offset:1296
	v_mul_u32_u24_e32 v12, 0x2d83, v165
	global_load_b128 v[44:47], v[94:95], off offset:1280
	v_lshrrev_b32_e32 v57, 20, v57
	v_and_b32_e32 v105, 0xffff, v58
	v_add_co_u32 v0, s0, s4, v0
	v_lshrrev_b32_e32 v107, 20, v12
	global_load_b128 v[40:43], v[94:95], off offset:1296
	v_add_co_ci_u32_e64 v1, s0, s5, v1, s0
	v_mul_u32_u24_e32 v13, 0x2d83, v166
	v_mul_lo_u16 v24, 0x5a, v107
	v_lshlrev_b32_e32 v14, 5, v96
	global_load_b128 v[8:11], v[0:1], off offset:1280
	v_cmp_lt_u32_e64 s0, 8, v108
	v_lshrrev_b32_e32 v122, 20, v13
	v_sub_nc_u16 v24, v118, v24
	global_load_b128 v[16:19], v14, s[4:5] offset:1280
	v_mul_u32_u24_e32 v200, 0x795d, v162
	v_cndmask_b32_e64 v199, 0, 0x10e0, s0
	v_mul_lo_u16 v13, 0x5a, v122
	v_and_b32_e32 v98, 0xffff, v24
	v_mul_u32_u24_e32 v24, 0x2d83, v163
	v_cmp_gt_u32_e64 s0, 27, v108
	v_mul_u32_u24_e32 v161, 0x795d, v161
	v_sub_nc_u16 v12, v119, v13
	v_lshlrev_b32_e32 v36, 5, v98
	v_lshrrev_b32_e32 v123, 20, v24
	v_lshlrev_b32_e32 v201, 4, v103
	v_mov_b32_e32 v149, v93
	v_and_b32_e32 v97, 0xffff, v12
	v_mul_u32_u24_e32 v219, 0x10e0, v124
	v_mul_lo_u16 v48, 0x5a, v123
	v_mul_u32_u24_e32 v218, 0x10e0, v123
	v_lshlrev_b32_e32 v179, 1, v110
	v_dual_mov_b32 v180, v93 :: v_dual_lshlrev_b32 v25, 5, v97
	s_delay_alu instid0(VALU_DEP_4)
	v_sub_nc_u16 v48, v117, v48
	v_dual_mov_b32 v184, v93 :: v_dual_lshlrev_b32 v183, 1, v121
	s_clause 0x2
	global_load_b128 v[32:35], v25, s[4:5] offset:1280
	global_load_b128 v[12:15], v14, s[4:5] offset:1296
	;; [unrolled: 1-line block ×3, first 2 shown]
	v_and_b32_e32 v99, 0xffff, v48
	v_mul_lo_u16 v48, 0x5a, v124
	global_load_b128 v[24:27], v36, s[4:5] offset:1280
	v_lshlrev_b64 v[179:180], 4, v[179:180]
	v_mul_u32_u24_e32 v217, 0x10e0, v107
	v_lshlrev_b32_e32 v49, 5, v99
	v_sub_nc_u16 v48, v116, v48
	v_mul_u32_u24_e32 v216, 0x10e0, v122
	v_add3_u32 v215, 0, v199, v201
	v_and_b32_e32 v199, 0xffff, v101
	global_load_b128 v[52:55], v49, s[4:5] offset:1280
	v_and_b32_e32 v102, 0xffff, v48
	s_clause 0x1
	global_load_b128 v[36:39], v36, s[4:5] offset:1296
	global_load_b128 v[48:51], v49, s[4:5] offset:1296
	v_mul_u32_u24_e32 v207, 0x10e0, v104
	v_lshlrev_b32_e32 v228, 4, v105
	v_lshlrev_b32_e32 v56, 5, v102
	;; [unrolled: 1-line block ×4, first 2 shown]
	v_mul_u32_u24_e32 v125, 0x10e0, v125
	v_lshlrev_b32_e32 v102, 4, v102
	s_clause 0x1
	global_load_b128 v[72:75], v56, s[4:5] offset:1280
	global_load_b128 v[68:71], v56, s[4:5] offset:1296
	v_mul_lo_u16 v56, 0x5a, v57
	v_lshlrev_b32_e32 v57, 5, v105
	s_delay_alu instid0(VALU_DEP_2) | instskip(SKIP_4) | instid1(VALU_DEP_1)
	v_sub_nc_u16 v56, v114, v56
	s_clause 0x1
	global_load_b128 v[60:63], v57, s[4:5] offset:1280
	global_load_b128 v[0:3], v[0:1], off offset:1296
	v_and_b32_e32 v106, 0xffff, v56
	v_lshlrev_b32_e32 v76, 5, v106
	s_clause 0x2
	global_load_b128 v[56:59], v57, s[4:5] offset:1296
	global_load_b128 v[64:67], v76, s[4:5] offset:1280
	;; [unrolled: 1-line block ×3, first 2 shown]
	ds_load_b128 v[88:91], v150 offset:12960
	ds_load_b128 v[84:87], v150 offset:25920
	;; [unrolled: 1-line block ×3, first 2 shown]
	ds_load_b128 v[127:130], v150
	ds_load_b128 v[131:134], v150 offset:27216
	ds_load_b128 v[135:138], v150 offset:24624
	;; [unrolled: 1-line block ×6, first 2 shown]
	v_lshl_add_u32 v229, v106, 4, 0
	s_waitcnt vmcnt(18) lgkmcnt(2)
	v_mul_f64 v[189:190], v[145:146], v[22:23]
	v_mul_f64 v[22:23], v[143:144], v[22:23]
	s_waitcnt vmcnt(17)
	v_mul_f64 v[147:148], v[90:91], v[46:47]
	v_mul_f64 v[46:47], v[88:89], v[46:47]
	s_waitcnt vmcnt(16)
	v_mul_f64 v[173:174], v[86:87], v[42:43]
	v_mul_f64 v[175:176], v[84:85], v[42:43]
	v_subrev_nc_u32_e32 v42, 27, v108
	s_waitcnt vmcnt(15)
	v_mul_f64 v[177:178], v[82:83], v[10:11]
	s_delay_alu instid0(VALU_DEP_2) | instskip(SKIP_2) | instid1(VALU_DEP_1)
	v_cndmask_b32_e64 v126, v42, v120, s0
	v_mul_f64 v[10:11], v[80:81], v[10:11]
	v_add_co_u32 v107, s0, s4, v179
	v_add_co_ci_u32_e64 v122, s0, s5, v180, s0
	v_fma_f64 v[143:144], v[143:144], v[20:21], -v[189:190]
	v_fma_f64 v[145:146], v[145:146], v[20:21], v[22:23]
	v_fma_f64 v[191:192], v[88:89], v[44:45], -v[147:148]
	v_fma_f64 v[46:47], v[90:91], v[44:45], v[46:47]
	ds_load_b128 v[42:45], v150 offset:18144
	v_mul_f64 v[185:186], v[141:142], v[6:7]
	ds_load_b128 v[88:91], v150 offset:19440
	v_mul_f64 v[187:188], v[139:140], v[6:7]
	v_fma_f64 v[173:174], v[84:85], v[40:41], -v[173:174]
	v_fma_f64 v[175:176], v[86:87], v[40:41], v[175:176]
	v_mul_u32_u24_e32 v40, 0x795d, v163
	s_waitcnt vmcnt(12) lgkmcnt(3)
	v_mul_f64 v[162:163], v[169:170], v[14:15]
	ds_load_b128 v[84:87], v150 offset:31104
	v_mul_u32_u24_e32 v41, 0x795d, v164
	v_fma_f64 v[80:81], v[80:81], v[8:9], -v[177:178]
	v_lshrrev_b32_e32 v103, 23, v40
	v_fma_f64 v[82:83], v[82:83], v[8:9], v[10:11]
	ds_load_b128 v[6:9], v150 offset:32400
	v_mul_f64 v[10:11], v[171:172], v[14:15]
	v_mul_u32_u24_e32 v231, 0x32a0, v103
	s_waitcnt lgkmcnt(3)
	v_mul_f64 v[177:178], v[44:45], v[34:35]
	v_mul_f64 v[34:35], v[42:43], v[34:35]
	s_waitcnt vmcnt(11) lgkmcnt(1)
	v_mul_f64 v[197:198], v[86:87], v[30:31]
	s_waitcnt vmcnt(3)
	v_mul_f64 v[181:182], v[133:134], v[2:3]
	v_mul_f64 v[2:3], v[131:132], v[2:3]
	s_waitcnt lgkmcnt(0)
	v_mul_f64 v[189:190], v[6:7], v[38:39]
	v_fma_f64 v[139:140], v[139:140], v[4:5], -v[185:186]
	v_fma_f64 v[141:142], v[141:142], v[4:5], v[187:188]
	v_mul_f64 v[4:5], v[84:85], v[30:31]
	v_mul_f64 v[187:188], v[8:9], v[38:39]
	v_fma_f64 v[42:43], v[42:43], v[32:33], -v[177:178]
	v_fma_f64 v[44:45], v[44:45], v[32:33], v[34:35]
	ds_load_b128 v[30:33], v150 offset:23328
	v_fma_f64 v[84:85], v[84:85], v[28:29], -v[197:198]
	v_fma_f64 v[131:132], v[131:132], v[0:1], -v[181:182]
	v_fma_f64 v[133:134], v[133:134], v[0:1], v[2:3]
	ds_load_b128 v[0:3], v150 offset:20736
	v_mul_f64 v[185:186], v[90:91], v[26:27]
	v_mul_f64 v[22:23], v[88:89], v[26:27]
	v_lshlrev_b64 v[181:182], 4, v[183:184]
	v_fma_f64 v[86:87], v[86:87], v[28:29], v[4:5]
	ds_load_b128 v[26:29], v150 offset:36288
	v_fma_f64 v[177:178], v[6:7], v[36:37], -v[187:188]
	v_add_co_u32 v101, s0, s4, v181
	s_delay_alu instid0(VALU_DEP_1)
	v_add_co_ci_u32_e64 v104, s0, s5, v182, s0
	v_add_f64 v[187:188], v[127:128], v[191:192]
	v_fma_f64 v[88:89], v[88:89], v[24:25], -v[185:186]
	v_fma_f64 v[90:91], v[90:91], v[24:25], v[22:23]
	ds_load_b128 v[22:25], v150 offset:37584
	v_mul_f64 v[147:148], v[167:168], v[18:19]
	v_mul_f64 v[193:194], v[165:166], v[18:19]
	v_add_nc_u32_e32 v18, 0x6c, v92
	v_add_nc_u32_e32 v92, 0x10e, v92
	v_fma_f64 v[185:186], v[8:9], v[36:37], v[189:190]
	s_waitcnt lgkmcnt(3)
	v_mul_f64 v[8:9], v[32:33], v[62:63]
	v_mul_f64 v[36:37], v[30:31], v[62:63]
	s_waitcnt vmcnt(2) lgkmcnt(1)
	v_mul_f64 v[62:63], v[28:29], v[58:59]
	v_lshlrev_b64 v[195:196], 4, v[92:93]
	v_lshrrev_b32_e32 v92, 23, v41
	ds_load_b128 v[38:41], v150 offset:22032
	v_mov_b32_e32 v19, v93
	v_mul_lo_u16 v92, 0x10e, v92
	s_delay_alu instid0(VALU_DEP_2)
	v_lshlrev_b64 v[183:184], 4, v[18:19]
	ds_load_b128 v[18:21], v159
	s_waitcnt vmcnt(0) lgkmcnt(2)
	v_mul_f64 v[179:180], v[24:25], v[78:79]
	v_sub_nc_u16 v92, v116, v92
	v_add_co_u32 v220, s0, s4, v183
	s_delay_alu instid0(VALU_DEP_1)
	v_add_co_ci_u32_e64 v221, s0, s5, v184, s0
	v_add_f64 v[183:184], v[129:130], v[46:47]
	s_waitcnt lgkmcnt(1)
	v_mul_f64 v[4:5], v[40:41], v[74:75]
	v_mul_f64 v[74:75], v[38:39], v[74:75]
	v_fma_f64 v[164:165], v[165:166], v[16:17], -v[147:148]
	v_fma_f64 v[166:167], v[167:168], v[16:17], v[193:194]
	v_lshrrev_b32_e32 v194, 23, v161
	v_fma_f64 v[168:169], v[169:170], v[12:13], -v[10:11]
	v_fma_f64 v[161:162], v[171:172], v[12:13], v[162:163]
	v_mul_f64 v[170:171], v[2:3], v[54:55]
	v_mul_f64 v[54:55], v[0:1], v[54:55]
	ds_load_b128 v[14:17], v150 offset:33696
	ds_load_b128 v[10:13], v150 offset:34992
	v_lshlrev_b32_e32 v148, 1, v126
	v_fma_f64 v[189:190], v[30:31], v[60:61], -v[8:9]
	v_fma_f64 v[62:63], v[26:27], v[56:57], -v[62:63]
	v_fma_f64 v[60:61], v[32:33], v[60:61], v[36:37]
	v_lshrrev_b32_e32 v193, 23, v200
	v_lshlrev_b64 v[123:124], 4, v[148:149]
	v_mul_lo_u16 v206, 0x10e, v194
	v_add_f64 v[201:202], v[90:91], v[185:186]
	v_mul_lo_u16 v149, 0x10e, v103
	v_mul_lo_u16 v205, 0x10e, v193
	v_add_f64 v[193:194], v[44:45], v[86:87]
	v_sub_nc_u16 v225, v114, v206
	s_delay_alu instid0(VALU_DEP_4) | instskip(NEXT) | instid1(VALU_DEP_4)
	v_sub_nc_u16 v149, v117, v149
	v_sub_nc_u16 v224, v115, v205
	s_waitcnt lgkmcnt(0)
	v_mul_f64 v[147:148], v[12:13], v[70:71]
	v_mul_f64 v[70:71], v[10:11], v[70:71]
	v_fma_f64 v[170:171], v[0:1], v[52:53], -v[170:171]
	v_fma_f64 v[52:53], v[2:3], v[52:53], v[54:55]
	ds_load_b128 v[0:3], v111
	v_mul_f64 v[34:35], v[16:17], v[50:51]
	v_mul_f64 v[50:51], v[14:15], v[50:51]
	;; [unrolled: 1-line block ×5, first 2 shown]
	s_waitcnt lgkmcnt(0)
	v_add_f64 v[30:31], v[2:3], v[82:83]
	v_add_f64 v[32:33], v[0:1], v[80:81]
	v_fma_f64 v[181:182], v[14:15], v[48:49], -v[34:35]
	v_fma_f64 v[48:49], v[16:17], v[48:49], v[50:51]
	v_fma_f64 v[50:51], v[38:39], v[72:73], -v[4:5]
	ds_load_b128 v[4:7], v160
	v_mul_f64 v[16:17], v[22:23], v[78:79]
	v_fma_f64 v[72:73], v[40:41], v[72:73], v[74:75]
	v_add_f64 v[38:39], v[46:47], v[175:176]
	v_fma_f64 v[74:75], v[10:11], v[68:69], -v[147:148]
	v_add_f64 v[40:41], v[80:81], v[131:132]
	v_add_f64 v[78:79], v[82:83], v[133:134]
	v_fma_f64 v[68:69], v[12:13], v[68:69], v[70:71]
	v_add_f64 v[147:148], v[141:142], v[145:146]
	v_fma_f64 v[54:55], v[28:29], v[56:57], v[54:55]
	v_fma_f64 v[56:57], v[135:136], v[64:65], -v[58:59]
	v_fma_f64 v[58:59], v[137:138], v[64:65], v[66:67]
	v_mul_u32_u24_e32 v14, 0x10e0, v199
	v_lshlrev_b32_e32 v15, 4, v100
	v_add_f64 v[34:35], v[191:192], v[173:174]
	v_add_f64 v[70:71], v[139:140], v[143:144]
	;; [unrolled: 1-line block ×3, first 2 shown]
	v_add_co_u32 v100, s0, s4, v195
	v_add3_u32 v223, 0, v14, v15
	s_waitcnt lgkmcnt(0)
	v_add_f64 v[64:65], v[4:5], v[139:140]
	ds_load_b128 v[8:11], v158
	ds_load_b128 v[12:15], v157
	v_add_f64 v[36:37], v[6:7], v[141:142]
	v_add_co_ci_u32_e64 v222, s0, s5, v196, s0
	v_fma_f64 v[66:67], v[22:23], v[76:77], -v[179:180]
	v_add_f64 v[137:138], v[20:21], v[166:167]
	v_add_f64 v[179:180], v[18:19], v[164:165]
	v_add_f64 v[46:47], v[46:47], -v[175:176]
	v_add_f64 v[199:200], v[88:89], v[177:178]
	v_add_f64 v[191:192], v[191:192], -v[173:174]
	v_add_f64 v[139:140], v[139:140], -v[143:144]
	;; [unrolled: 1-line block ×7, first 2 shown]
	v_fma_f64 v[76:77], v[24:25], v[76:77], v[16:17]
	v_add_f64 v[16:17], v[164:165], v[168:169]
	v_fma_f64 v[129:130], v[38:39], -0.5, v[129:130]
	v_add_f64 v[38:39], v[42:43], v[84:85]
	v_fma_f64 v[195:196], v[40:41], -0.5, v[0:1]
	v_fma_f64 v[78:79], v[78:79], -0.5, v[2:3]
	s_waitcnt lgkmcnt(1)
	v_add_f64 v[40:41], v[10:11], v[44:45]
	v_add_f64 v[197:198], v[8:9], v[42:43]
	v_fma_f64 v[147:148], v[147:148], -0.5, v[6:7]
	v_add_f64 v[2:3], v[183:184], v[175:176]
	v_add_f64 v[0:1], v[187:188], v[173:174]
	s_waitcnt lgkmcnt(0)
	v_add_f64 v[172:173], v[14:15], v[90:91]
	v_add_f64 v[174:175], v[12:13], v[88:89]
	;; [unrolled: 1-line block ×3, first 2 shown]
	ds_load_b128 v[22:25], v156
	ds_load_b128 v[26:29], v154
	v_fma_f64 v[127:128], v[34:35], -0.5, v[127:128]
	v_fma_f64 v[70:71], v[70:71], -0.5, v[4:5]
	v_add_f64 v[4:5], v[32:33], v[131:132]
	v_add_f64 v[133:134], v[52:53], v[48:49]
	;; [unrolled: 1-line block ×6, first 2 shown]
	ds_load_b128 v[34:37], v155
	v_add_f64 v[131:132], v[170:171], v[181:182]
	v_fma_f64 v[135:136], v[135:136], -0.5, v[20:21]
	v_add_f64 v[20:21], v[189:190], v[62:63]
	v_add_f64 v[183:184], v[60:61], v[54:55]
	v_add_f64 v[163:164], v[164:165], -v[168:169]
	v_add_f64 v[90:91], v[90:91], -v[185:186]
	;; [unrolled: 1-line block ×6, first 2 shown]
	v_add_co_u32 v187, s0, 0x1040, v94
	s_delay_alu instid0(VALU_DEP_1)
	v_add_co_ci_u32_e64 v188, s0, 0, v95, s0
	v_add_f64 v[211:212], v[58:59], -v[76:77]
	v_fma_f64 v[145:146], v[16:17], -0.5, v[18:19]
	v_add_f64 v[18:19], v[137:138], v[161:162]
	v_add_f64 v[16:17], v[179:180], v[168:169]
	v_add_f64 v[137:138], v[44:45], -v[86:87]
	v_fma_f64 v[161:162], v[38:39], -0.5, v[8:9]
	v_fma_f64 v[168:169], v[193:194], -0.5, v[10:11]
	v_add_f64 v[10:11], v[40:41], v[86:87]
	v_add_f64 v[8:9], v[197:198], v[84:85]
	v_fma_f64 v[86:87], v[199:200], -0.5, v[12:13]
	v_fma_f64 v[193:194], v[201:202], -0.5, v[14:15]
	ds_load_b128 v[12:15], v153
	v_add_f64 v[84:85], v[42:43], -v[84:85]
	v_add_f64 v[40:41], v[172:173], v[185:186]
	v_add_f64 v[38:39], v[174:175], v[177:178]
	s_waitcnt lgkmcnt(2)
	v_add_f64 v[42:43], v[28:29], v[72:73]
	v_add_f64 v[172:173], v[26:27], v[50:51]
	s_waitcnt lgkmcnt(1)
	v_add_f64 v[174:175], v[36:37], v[60:61]
	v_add_f64 v[44:45], v[24:25], v[52:53]
	;; [unrolled: 1-line block ×3, first 2 shown]
	v_fma_f64 v[185:186], v[64:65], -0.5, v[26:27]
	v_fma_f64 v[28:29], v[143:144], -0.5, v[28:29]
	v_add_f64 v[64:65], v[56:57], v[66:67]
	v_add_f64 v[143:144], v[58:59], v[76:77]
	v_fma_f64 v[133:134], v[133:134], -0.5, v[24:25]
	v_lshlrev_b32_e32 v24, 4, v96
	v_add_f64 v[179:180], v[22:23], v[170:171]
	v_fma_f64 v[131:132], v[131:132], -0.5, v[22:23]
	v_add_f64 v[170:171], v[170:171], -v[181:182]
	v_fma_f64 v[199:200], v[20:21], -0.5, v[34:35]
	v_add3_u32 v230, 0, v207, v24
	s_waitcnt lgkmcnt(0)
	v_add_f64 v[203:204], v[12:13], v[56:57]
	v_add_f64 v[201:202], v[14:15], v[58:59]
	v_add_f64 v[207:208], v[50:51], -v[74:75]
	v_fma_f64 v[183:184], v[183:184], -0.5, v[36:37]
	v_add_f64 v[189:190], v[189:190], -v[62:63]
	v_fma_f64 v[50:51], v[82:83], s[2:3], v[195:196]
	v_fma_f64 v[52:53], v[80:81], s[6:7], v[78:79]
	v_fma_f64 v[56:57], v[80:81], s[2:3], v[78:79]
	v_fma_f64 v[58:59], v[141:142], s[2:3], v[70:71]
	v_fma_f64 v[60:61], v[139:140], s[6:7], v[147:148]
	v_fma_f64 v[72:73], v[163:164], s[2:3], v[135:136]
	v_add_co_u32 v197, s0, 0x1000, v94
	v_fma_f64 v[78:79], v[137:138], s[6:7], v[161:162]
	v_add_co_ci_u32_e64 v198, s0, 0, v95, s0
	v_add_co_u32 v178, s0, 0x1000, v107
	v_fma_f64 v[80:81], v[84:85], s[2:3], v[168:169]
	s_barrier
	buffer_gl0_inv
	v_add_f64 v[26:27], v[42:43], v[68:69]
	v_add_f64 v[24:25], v[172:173], v[74:75]
	;; [unrolled: 1-line block ×4, first 2 shown]
	v_fma_f64 v[42:43], v[46:47], s[2:3], v[127:128]
	v_fma_f64 v[44:45], v[191:192], s[6:7], v[129:130]
	;; [unrolled: 1-line block ×3, first 2 shown]
	v_fma_f64 v[172:173], v[64:65], -0.5, v[12:13]
	v_fma_f64 v[174:175], v[143:144], -0.5, v[14:15]
	v_fma_f64 v[48:49], v[191:192], s[2:3], v[129:130]
	v_fma_f64 v[54:55], v[82:83], s[6:7], v[195:196]
	v_add_f64 v[34:35], v[176:177], v[62:63]
	v_fma_f64 v[62:63], v[141:142], s[6:7], v[70:71]
	v_fma_f64 v[64:65], v[139:140], s[2:3], v[147:148]
	;; [unrolled: 1-line block ×4, first 2 shown]
	v_add_f64 v[12:13], v[203:204], v[66:67]
	v_fma_f64 v[66:67], v[166:167], s[2:3], v[145:146]
	v_add_f64 v[14:15], v[201:202], v[76:77]
	v_fma_f64 v[74:75], v[137:138], s[2:3], v[161:162]
	v_fma_f64 v[76:77], v[84:85], s[6:7], v[168:169]
	;; [unrolled: 1-line block ×6, first 2 shown]
	v_add_f64 v[20:21], v[179:180], v[181:182]
	v_lshlrev_b32_e32 v182, 4, v97
	v_fma_f64 v[96:97], v[205:206], s[2:3], v[131:132]
	v_fma_f64 v[98:99], v[170:171], s[6:7], v[133:134]
	;; [unrolled: 1-line block ×12, first 2 shown]
	v_add_co_ci_u32_e64 v179, s0, 0, v122, s0
	v_add_co_u32 v180, s0, 0x1040, v107
	s_delay_alu instid0(VALU_DEP_1)
	v_add_co_ci_u32_e64 v181, s0, 0, v122, s0
	v_fma_f64 v[161:162], v[211:212], s[2:3], v[172:173]
	v_fma_f64 v[163:164], v[213:214], s[6:7], v[174:175]
	;; [unrolled: 1-line block ×4, first 2 shown]
	v_add3_u32 v28, 0, v216, v182
	v_add3_u32 v29, 0, v217, v226
	;; [unrolled: 1-line block ×5, first 2 shown]
	ds_store_b128 v150, v[0:3]
	ds_store_b128 v150, v[42:45] offset:1440
	ds_store_b128 v150, v[46:49] offset:2880
	ds_store_b128 v215, v[4:7]
	ds_store_b128 v215, v[50:53] offset:1440
	ds_store_b128 v215, v[54:57] offset:2880
	;; [unrolled: 3-line block ×9, first 2 shown]
	ds_store_b128 v229, v[12:15] offset:34560
	ds_store_b128 v229, v[161:164] offset:36000
	;; [unrolled: 1-line block ×3, first 2 shown]
	v_add_co_u32 v0, s0, 0x1000, v101
	s_waitcnt lgkmcnt(0)
	s_barrier
	buffer_gl0_inv
	s_clause 0x1
	global_load_b128 v[48:51], v[197:198], off offset:64
	global_load_b128 v[52:55], v[187:188], off offset:16
	v_add_co_ci_u32_e64 v1, s0, 0, v104, s0
	v_add_co_u32 v2, s0, 0x1040, v101
	s_clause 0x2
	global_load_b128 v[56:59], v[178:179], off offset:64
	global_load_b128 v[36:39], v[180:181], off offset:16
	;; [unrolled: 1-line block ×3, first 2 shown]
	v_add_co_ci_u32_e64 v3, s0, 0, v104, s0
	v_add_co_u32 v8, s0, s4, v123
	s_delay_alu instid0(VALU_DEP_1) | instskip(SKIP_2) | instid1(VALU_DEP_1)
	v_add_co_ci_u32_e64 v9, s0, s5, v124, s0
	global_load_b128 v[72:75], v[2:3], off offset:16
	v_add_co_u32 v4, s0, 0x1000, v220
	v_add_co_ci_u32_e64 v5, s0, 0, v221, s0
	v_add_co_u32 v6, s0, 0x1040, v220
	s_delay_alu instid0(VALU_DEP_1) | instskip(SKIP_1) | instid1(VALU_DEP_1)
	v_add_co_ci_u32_e64 v7, s0, 0, v221, s0
	v_add_co_u32 v0, s0, 0x1000, v8
	v_add_co_ci_u32_e64 v1, s0, 0, v9, s0
	s_clause 0x1
	global_load_b128 v[64:67], v[4:5], off offset:64
	global_load_b128 v[44:47], v[6:7], off offset:16
	v_add_co_u32 v2, s0, 0x1040, v8
	global_load_b128 v[68:71], v[0:1], off offset:64
	v_add_co_ci_u32_e64 v3, s0, 0, v9, s0
	v_and_b32_e32 v96, 0xffff, v149
	v_and_b32_e32 v97, 0xffff, v92
	;; [unrolled: 1-line block ×3, first 2 shown]
	global_load_b128 v[60:63], v[2:3], off offset:16
	v_add_co_u32 v0, s0, 0x1000, v100
	v_lshlrev_b32_e32 v8, 5, v96
	v_add_co_ci_u32_e64 v1, s0, 0, v222, s0
	v_add_co_u32 v2, s0, 0x1040, v100
	v_lshlrev_b32_e32 v4, 5, v97
	v_add_co_ci_u32_e64 v3, s0, 0, v222, s0
	v_lshlrev_b32_e32 v5, 5, v98
	v_add_co_u32 v6, s0, s4, v8
	s_delay_alu instid0(VALU_DEP_1) | instskip(SKIP_1) | instid1(VALU_DEP_1)
	v_add_co_ci_u32_e64 v7, null, s5, 0, s0
	v_add_co_u32 v8, s0, s4, v4
	v_add_co_ci_u32_e64 v9, null, s5, 0, s0
	v_add_co_u32 v13, s0, s4, v5
	s_clause 0x1
	global_load_b128 v[40:43], v[0:1], off offset:64
	global_load_b128 v[20:23], v[2:3], off offset:16
	v_add_co_ci_u32_e64 v14, null, s5, 0, s0
	v_add_co_u32 v0, s0, 0x1000, v6
	s_delay_alu instid0(VALU_DEP_1) | instskip(SKIP_1) | instid1(VALU_DEP_1)
	v_add_co_ci_u32_e64 v1, s0, 0, v7, s0
	v_add_co_u32 v4, s0, 0x1040, v6
	v_add_co_ci_u32_e64 v5, s0, 0, v7, s0
	v_add_co_u32 v6, s0, 0x1000, v8
	s_delay_alu instid0(VALU_DEP_1) | instskip(SKIP_1) | instid1(VALU_DEP_1)
	v_add_co_ci_u32_e64 v7, s0, 0, v9, s0
	v_add_co_u32 v8, s0, 0x1040, v8
	v_add_co_ci_u32_e64 v9, s0, 0, v9, s0
	v_add_co_u32 v10, s0, 0x1000, v13
	s_delay_alu instid0(VALU_DEP_1)
	v_add_co_ci_u32_e64 v11, s0, 0, v14, s0
	s_clause 0x4
	global_load_b128 v[0:3], v[0:1], off offset:64
	global_load_b128 v[16:19], v[4:5], off offset:16
	;; [unrolled: 1-line block ×5, first 2 shown]
	v_and_b32_e32 v99, 0xffff, v225
	v_lshlrev_b32_e32 v102, 4, v126
	v_lshlrev_b32_e32 v92, 1, v120
	v_lshl_add_u32 v235, v98, 4, 0
	v_lshlrev_b32_e32 v233, 4, v96
	v_lshlrev_b32_e32 v12, 5, v99
	v_lshl_add_u32 v236, v99, 4, 0
	v_lshlrev_b64 v[173:174], 4, v[92:93]
	v_lshl_add_u32 v234, v97, 4, 0
	v_lshlrev_b32_e32 v92, 1, v119
	v_add_co_u32 v32, s0, s4, v12
	s_delay_alu instid0(VALU_DEP_1) | instskip(SKIP_1) | instid1(VALU_DEP_1)
	v_add_co_ci_u32_e64 v33, null, s5, 0, s0
	v_add_co_u32 v12, s0, 0x1040, v13
	v_add_co_ci_u32_e64 v13, s0, 0, v14, s0
	s_delay_alu instid0(VALU_DEP_4) | instskip(NEXT) | instid1(VALU_DEP_1)
	v_add_co_u32 v28, s0, 0x1000, v32
	v_add_co_ci_u32_e64 v29, s0, 0, v33, s0
	v_add_co_u32 v32, s0, 0x1040, v32
	s_delay_alu instid0(VALU_DEP_1)
	v_add_co_ci_u32_e64 v33, s0, 0, v33, s0
	s_clause 0x1
	global_load_b128 v[12:15], v[12:13], off offset:16
	global_load_b128 v[28:31], v[28:29], off offset:64
	v_cmp_lt_u32_e64 s0, 26, v108
	v_lshlrev_b64 v[185:186], 4, v[92:93]
	global_load_b128 v[32:35], v[32:33], off offset:16
	ds_load_b128 v[84:87], v150 offset:12960
	ds_load_b128 v[80:83], v150 offset:25920
	;; [unrolled: 1-line block ×4, first 2 shown]
	ds_load_b128 v[127:130], v150
	ds_load_b128 v[131:134], v150 offset:15552
	v_cndmask_b32_e64 v100, 0, 0x32a0, s0
	ds_load_b128 v[135:138], v150 offset:28512
	ds_load_b128 v[139:142], v150 offset:24624
	ds_load_b128 v[143:146], v150 offset:16848
	ds_load_b128 v[161:164], v150 offset:29808
	ds_load_b128 v[169:172], v150 offset:31104
	ds_load_b128 v[165:168], v150 offset:18144
	v_add3_u32 v100, 0, v100, v102
	v_lshlrev_b32_e32 v92, 1, v118
	s_waitcnt vmcnt(19) lgkmcnt(11)
	v_mul_f64 v[105:106], v[86:87], v[50:51]
	v_mul_f64 v[147:148], v[84:85], v[50:51]
	v_add_co_u32 v50, s0, 0x3000, v94
	s_delay_alu instid0(VALU_DEP_1) | instskip(SKIP_4) | instid1(VALU_DEP_1)
	v_add_co_ci_u32_e64 v51, s0, 0, v95, s0
	s_waitcnt vmcnt(18) lgkmcnt(10)
	v_mul_f64 v[102:103], v[82:83], v[54:55]
	v_mul_f64 v[175:176], v[80:81], v[54:55]
	v_add_co_u32 v54, s0, 0x3200, v94
	v_add_co_ci_u32_e64 v55, s0, 0, v95, s0
	s_waitcnt vmcnt(15) lgkmcnt(6)
	v_mul_f64 v[94:95], v[133:134], v[78:79]
	v_mul_f64 v[183:184], v[131:132], v[78:79]
	;; [unrolled: 1-line block ×6, first 2 shown]
	s_waitcnt vmcnt(14) lgkmcnt(5)
	v_mul_f64 v[187:188], v[137:138], v[74:75]
	v_mul_f64 v[189:190], v[135:136], v[74:75]
	v_add_co_u32 v38, s0, 0x3000, v107
	s_delay_alu instid0(VALU_DEP_1)
	v_add_co_ci_u32_e64 v39, s0, 0, v122, s0
	s_waitcnt vmcnt(11) lgkmcnt(3)
	v_mul_f64 v[191:192], v[145:146], v[70:71]
	v_mul_f64 v[193:194], v[143:144], v[70:71]
	s_waitcnt vmcnt(10) lgkmcnt(2)
	v_mul_f64 v[195:196], v[163:164], v[62:63]
	v_fma_f64 v[105:106], v[84:85], v[48:49], -v[105:106]
	v_fma_f64 v[147:148], v[86:87], v[48:49], v[147:148]
	v_add_co_u32 v48, s0, 0x3200, v107
	ds_load_b128 v[84:87], v150 offset:19440
	v_mul_f64 v[62:63], v[161:162], v[62:63]
	v_fma_f64 v[197:198], v[80:81], v[52:53], -v[102:103]
	v_fma_f64 v[52:53], v[82:83], v[52:53], v[175:176]
	ds_load_b128 v[78:81], v150 offset:32400
	v_add_co_ci_u32_e64 v49, s0, 0, v122, s0
	v_fma_f64 v[94:95], v[131:132], v[76:77], -v[94:95]
	v_fma_f64 v[131:132], v[133:134], v[76:77], v[183:184]
	ds_load_b128 v[74:77], v150 offset:22032
	s_waitcnt lgkmcnt(4)
	v_mul_f64 v[199:200], v[171:172], v[46:47]
	v_mul_f64 v[46:47], v[169:170], v[46:47]
	v_fma_f64 v[175:176], v[88:89], v[56:57], -v[177:178]
	v_fma_f64 v[177:178], v[90:91], v[56:57], v[58:59]
	ds_load_b128 v[88:91], v150 offset:33696
	s_waitcnt lgkmcnt(4)
	v_mul_f64 v[82:83], v[167:168], v[66:67]
	v_mul_f64 v[102:103], v[165:166], v[66:67]
	ds_load_b128 v[56:59], v150 offset:20736
	v_fma_f64 v[179:180], v[123:124], v[36:37], -v[179:180]
	v_fma_f64 v[181:182], v[125:126], v[36:37], v[181:182]
	v_fma_f64 v[133:134], v[135:136], v[72:73], -v[187:188]
	v_fma_f64 v[135:136], v[137:138], v[72:73], v[189:190]
	ds_load_b128 v[70:73], v159
	s_waitcnt vmcnt(9) lgkmcnt(5)
	v_mul_f64 v[201:202], v[86:87], v[42:43]
	v_mul_f64 v[42:43], v[84:85], v[42:43]
	s_waitcnt vmcnt(8) lgkmcnt(4)
	v_mul_f64 v[137:138], v[80:81], v[22:23]
	v_fma_f64 v[143:144], v[143:144], v[68:69], -v[191:192]
	v_fma_f64 v[145:146], v[145:146], v[68:69], v[193:194]
	ds_load_b128 v[66:69], v150 offset:34992
	ds_load_b128 v[122:125], v150 offset:23328
	v_mul_f64 v[22:23], v[78:79], v[22:23]
	v_add_co_u32 v36, s0, 0x3000, v101
	s_delay_alu instid0(VALU_DEP_1)
	v_add_co_ci_u32_e64 v37, s0, 0, v104, s0
	v_fma_f64 v[161:162], v[161:162], v[60:61], -v[195:196]
	v_lshlrev_b64 v[193:194], 4, v[92:93]
	v_lshlrev_b32_e32 v92, 1, v117
	v_fma_f64 v[163:164], v[163:164], v[60:61], v[62:63]
	ds_load_b128 v[60:63], v150 offset:36288
	s_waitcnt vmcnt(7) lgkmcnt(4)
	v_mul_f64 v[183:184], v[58:59], v[2:3]
	v_mul_f64 v[187:188], v[56:57], v[2:3]
	v_add_co_u32 v2, s0, 0x3200, v101
	s_delay_alu instid0(VALU_DEP_1)
	v_add_co_ci_u32_e64 v3, s0, 0, v104, s0
	s_waitcnt vmcnt(6)
	v_mul_f64 v[189:190], v[90:91], v[18:19]
	v_add_co_u32 v107, s0, s4, v173
	v_fma_f64 v[171:172], v[171:172], v[44:45], v[46:47]
	s_waitcnt vmcnt(4) lgkmcnt(2)
	v_mul_f64 v[46:47], v[68:69], v[26:27]
	v_mul_f64 v[26:27], v[66:67], v[26:27]
	v_fma_f64 v[169:170], v[169:170], v[44:45], -v[199:200]
	v_fma_f64 v[82:83], v[165:166], v[64:65], -v[82:83]
	v_fma_f64 v[64:65], v[167:168], v[64:65], v[102:103]
	v_mul_f64 v[167:168], v[76:77], v[6:7]
	v_mul_f64 v[44:45], v[74:75], v[6:7]
	;; [unrolled: 1-line block ×3, first 2 shown]
	ds_load_b128 v[101:104], v150 offset:37584
	s_waitcnt vmcnt(3) lgkmcnt(2)
	v_mul_f64 v[191:192], v[124:125], v[10:11]
	v_mul_f64 v[10:11], v[122:123], v[10:11]
	v_fma_f64 v[84:85], v[84:85], v[40:41], -v[201:202]
	v_fma_f64 v[86:87], v[86:87], v[40:41], v[42:43]
	v_add_co_ci_u32_e64 v126, s0, s5, v174, s0
	v_fma_f64 v[78:79], v[78:79], v[20:21], -v[137:138]
	v_add_f64 v[195:196], v[131:132], v[135:136]
	v_fma_f64 v[80:81], v[80:81], v[20:21], v[22:23]
	ds_load_b128 v[18:21], v111
	s_waitcnt vmcnt(2) lgkmcnt(2)
	v_mul_f64 v[40:41], v[62:63], v[14:15]
	v_mul_f64 v[42:43], v[60:61], v[14:15]
	s_waitcnt vmcnt(1)
	v_mul_f64 v[137:138], v[141:142], v[30:31]
	v_mul_f64 v[30:31], v[139:140], v[30:31]
	v_add_f64 v[199:200], v[143:144], v[161:162]
	v_add_co_u32 v6, s0, 0x3000, v107
	v_add_f64 v[201:202], v[145:146], v[163:164]
	v_add_co_ci_u32_e64 v7, s0, 0, v126, s0
	v_fma_f64 v[187:188], v[58:59], v[0:1], v[187:188]
	v_fma_f64 v[183:184], v[56:57], v[0:1], -v[183:184]
	v_add_f64 v[56:57], v[105:106], v[197:198]
	v_add_f64 v[58:59], v[147:148], v[52:53]
	v_add_co_u32 v0, s0, 0x3200, v107
	v_fma_f64 v[88:89], v[88:89], v[16:17], -v[189:190]
	v_add_co_ci_u32_e64 v1, s0, 0, v126, s0
	v_fma_f64 v[66:67], v[66:67], v[24:25], -v[46:47]
	v_fma_f64 v[68:69], v[68:69], v[24:25], v[26:27]
	ds_load_b128 v[22:25], v157
	s_waitcnt vmcnt(0) lgkmcnt(2)
	v_mul_f64 v[173:174], v[103:104], v[34:35]
	v_mul_f64 v[34:35], v[101:102], v[34:35]
	v_fma_f64 v[74:75], v[74:75], v[4:5], -v[167:168]
	v_fma_f64 v[4:5], v[76:77], v[4:5], v[44:45]
	v_fma_f64 v[90:91], v[90:91], v[16:17], v[165:166]
	ds_load_b128 v[14:17], v160
	v_add_f64 v[76:77], v[127:128], v[105:106]
	v_add_f64 v[44:45], v[129:130], v[147:148]
	;; [unrolled: 1-line block ×4, first 2 shown]
	v_fma_f64 v[122:123], v[122:123], v[8:9], -v[191:192]
	s_waitcnt lgkmcnt(2)
	v_add_f64 v[167:168], v[20:21], v[177:178]
	v_add_f64 v[191:192], v[94:95], v[133:134]
	v_fma_f64 v[124:125], v[124:125], v[8:9], v[10:11]
	ds_load_b128 v[8:11], v158
	v_add_f64 v[189:190], v[18:19], v[175:176]
	v_fma_f64 v[203:204], v[60:61], v[12:13], -v[40:41]
	v_fma_f64 v[205:206], v[62:63], v[12:13], v[42:43]
	v_fma_f64 v[137:138], v[139:140], v[28:29], -v[137:138]
	v_fma_f64 v[139:140], v[141:142], v[28:29], v[30:31]
	v_add_f64 v[141:142], v[72:73], v[145:146]
	v_add_f64 v[211:212], v[84:85], v[78:79]
	;; [unrolled: 1-line block ×3, first 2 shown]
	ds_load_b128 v[26:29], v156
	ds_load_b128 v[40:43], v154
	v_add_f64 v[207:208], v[64:65], v[171:172]
	s_waitcnt lgkmcnt(3)
	v_add_f64 v[60:61], v[16:17], v[131:132]
	v_add_f64 v[62:63], v[14:15], v[94:95]
	v_add_f64 v[105:106], v[105:106], -v[197:198]
	v_add_f64 v[177:178], v[177:178], -v[181:182]
	v_fma_f64 v[126:127], v[56:57], -0.5, v[127:128]
	v_fma_f64 v[128:129], v[58:59], -0.5, v[129:130]
	v_add_f64 v[130:131], v[131:132], -v[135:136]
	v_add_f64 v[94:95], v[94:95], -v[133:134]
	v_fma_f64 v[16:17], v[195:196], -0.5, v[16:17]
	s_waitcnt lgkmcnt(2)
	v_add_f64 v[209:210], v[10:11], v[64:65]
	v_add_f64 v[175:176], v[175:176], -v[179:180]
	v_add_f64 v[98:99], v[82:83], -v[169:170]
	v_add_co_u32 v107, s0, s4, v185
	v_fma_f64 v[101:102], v[101:102], v[32:33], -v[173:174]
	v_fma_f64 v[34:35], v[103:104], v[32:33], v[34:35]
	v_add_f64 v[103:104], v[147:148], -v[52:53]
	v_add_f64 v[147:148], v[70:71], v[143:144]
	v_add_f64 v[173:174], v[82:83], v[169:170]
	v_add_f64 v[215:216], v[74:75], v[66:67]
	v_add_f64 v[217:218], v[4:5], v[68:69]
	v_add_f64 v[30:31], v[76:77], v[197:198]
	v_add_f64 v[76:77], v[187:188], v[90:91]
	v_add_f64 v[32:33], v[44:45], v[52:53]
	v_fma_f64 v[197:198], v[46:47], -0.5, v[18:19]
	v_fma_f64 v[165:166], v[165:166], -0.5, v[20:21]
	v_add_f64 v[20:21], v[167:168], v[181:182]
	v_fma_f64 v[181:182], v[191:192], -0.5, v[14:15]
	ds_load_b128 v[12:15], v155
	ds_load_b128 v[44:47], v153
	v_add_f64 v[167:168], v[8:9], v[82:83]
	v_add_f64 v[52:53], v[183:184], v[88:89]
	;; [unrolled: 1-line block ×3, first 2 shown]
	v_fma_f64 v[189:190], v[199:200], -0.5, v[70:71]
	v_add_f64 v[199:200], v[124:125], v[205:206]
	v_fma_f64 v[191:192], v[201:202], -0.5, v[72:73]
	v_fma_f64 v[179:180], v[211:212], -0.5, v[22:23]
	;; [unrolled: 1-line block ×3, first 2 shown]
	v_add_f64 v[70:71], v[24:25], v[86:87]
	v_add_f64 v[58:59], v[60:61], v[135:136]
	;; [unrolled: 1-line block ×3, first 2 shown]
	v_add_f64 v[132:133], v[145:146], -v[163:164]
	v_add_f64 v[62:63], v[141:142], v[163:164]
	s_waitcnt lgkmcnt(2)
	v_add_f64 v[163:164], v[40:41], v[74:75]
	v_add_f64 v[145:146], v[64:65], -v[171:172]
	v_add_f64 v[64:65], v[42:43], v[4:5]
	v_add_f64 v[72:73], v[22:23], v[84:85]
	v_add_f64 v[134:135], v[143:144], -v[161:162]
	s_waitcnt lgkmcnt(1)
	v_add_f64 v[201:202], v[14:15], v[124:125]
	v_add_f64 v[143:144], v[28:29], v[187:188]
	;; [unrolled: 1-line block ×3, first 2 shown]
	v_add_f64 v[187:188], v[187:188], -v[90:91]
	v_add_f64 v[183:184], v[183:184], -v[88:89]
	v_add_f64 v[211:212], v[137:138], v[101:102]
	v_add_f64 v[4:5], v[4:5], -v[68:69]
	v_add_f64 v[221:222], v[74:75], -v[66:67]
	v_add_f64 v[60:61], v[147:148], v[161:162]
	v_fma_f64 v[147:148], v[173:174], -0.5, v[8:9]
	v_add_f64 v[173:174], v[122:123], v[203:204]
	v_fma_f64 v[213:214], v[215:216], -0.5, v[40:41]
	v_fma_f64 v[215:216], v[217:218], -0.5, v[42:43]
	v_add_f64 v[217:218], v[139:140], v[34:35]
	v_fma_f64 v[161:162], v[207:208], -0.5, v[10:11]
	v_fma_f64 v[207:208], v[76:77], -0.5, v[28:29]
	v_add_f64 v[76:77], v[12:13], v[122:123]
	v_add_f64 v[10:11], v[209:210], v[171:172]
	v_add_f64 v[171:172], v[84:85], -v[78:79]
	v_add_f64 v[223:224], v[124:125], -v[205:206]
	v_add_f64 v[8:9], v[167:168], v[169:170]
	s_waitcnt lgkmcnt(0)
	v_add_f64 v[167:168], v[44:45], v[137:138]
	v_add_f64 v[169:170], v[86:87], -v[80:81]
	v_fma_f64 v[52:53], v[52:53], -0.5, v[26:27]
	v_add_f64 v[225:226], v[122:123], -v[203:204]
	v_add_f64 v[227:228], v[139:140], -v[34:35]
	;; [unrolled: 1-line block ×3, first 2 shown]
	v_add_f64 v[219:220], v[46:47], v[139:140]
	v_add_f64 v[24:25], v[70:71], v[80:81]
	v_fma_f64 v[70:71], v[105:106], s[2:3], v[128:129]
	v_fma_f64 v[74:75], v[175:176], s[6:7], v[165:166]
	;; [unrolled: 1-line block ×4, first 2 shown]
	v_add_f64 v[40:41], v[163:164], v[66:67]
	v_fma_f64 v[66:67], v[105:106], s[6:7], v[128:129]
	v_add_f64 v[42:43], v[64:65], v[68:69]
	v_fma_f64 v[64:65], v[103:104], s[2:3], v[126:127]
	v_fma_f64 v[68:69], v[103:104], s[6:7], v[126:127]
	v_add_f64 v[22:23], v[72:73], v[78:79]
	v_fma_f64 v[72:73], v[177:178], s[2:3], v[197:198]
	v_fma_f64 v[78:79], v[175:176], s[2:3], v[165:166]
	;; [unrolled: 1-line block ×4, first 2 shown]
	v_add_f64 v[28:29], v[143:144], v[90:91]
	v_add_f64 v[26:27], v[141:142], v[88:89]
	v_fma_f64 v[88:89], v[132:133], s[2:3], v[189:190]
	v_fma_f64 v[90:91], v[134:135], s[6:7], v[191:192]
	;; [unrolled: 1-line block ×3, first 2 shown]
	v_fma_f64 v[163:164], v[173:174], -0.5, v[12:13]
	v_fma_f64 v[173:174], v[199:200], -0.5, v[14:15]
	v_add_f64 v[14:15], v[201:202], v[205:206]
	v_fma_f64 v[199:200], v[211:212], -0.5, v[44:45]
	v_fma_f64 v[201:202], v[217:218], -0.5, v[46:47]
	v_fma_f64 v[96:97], v[134:135], s[2:3], v[191:192]
	v_add_f64 v[12:13], v[76:77], v[203:204]
	v_fma_f64 v[76:77], v[177:178], s[6:7], v[197:198]
	v_fma_f64 v[103:104], v[98:99], s[6:7], v[161:162]
	;; [unrolled: 1-line block ×4, first 2 shown]
	v_add_f64 v[44:45], v[167:168], v[101:102]
	v_fma_f64 v[101:102], v[145:146], s[2:3], v[147:148]
	v_fma_f64 v[126:127], v[169:170], s[2:3], v[179:180]
	;; [unrolled: 1-line block ×13, first 2 shown]
	v_add_f64 v[46:47], v[219:220], v[34:35]
	v_add_co_ci_u32_e64 v232, s0, s5, v186, s0
	v_add_co_u32 v209, s0, 0x3000, v107
	v_add3_u32 v16, 0, v231, v233
	s_delay_alu instid0(VALU_DEP_3)
	v_add_co_ci_u32_e64 v210, s0, 0, v232, s0
	s_barrier
	buffer_gl0_inv
	v_add_co_u32 v4, s0, 0x3200, v107
	v_fma_f64 v[161:162], v[223:224], s[2:3], v[163:164]
	v_fma_f64 v[165:166], v[223:224], s[6:7], v[163:164]
	;; [unrolled: 1-line block ×8, first 2 shown]
	ds_store_b128 v150, v[30:33]
	ds_store_b128 v150, v[64:67] offset:4320
	ds_store_b128 v150, v[68:71] offset:8640
	ds_store_b128 v111, v[18:21]
	ds_store_b128 v111, v[72:75] offset:4320
	ds_store_b128 v111, v[76:79] offset:8640
	;; [unrolled: 3-line block ×4, first 2 shown]
	ds_store_b128 v150, v[8:11] offset:13824
	ds_store_b128 v150, v[22:25] offset:15120
	;; [unrolled: 1-line block ×6, first 2 shown]
	ds_store_b128 v16, v[26:29]
	ds_store_b128 v16, v[134:137] offset:4320
	ds_store_b128 v16, v[138:141] offset:8640
	;; [unrolled: 1-line block ×11, first 2 shown]
	s_waitcnt lgkmcnt(0)
	s_barrier
	buffer_gl0_inv
	s_clause 0x1
	global_load_b128 v[8:11], v[50:51], off offset:512
	global_load_b128 v[20:23], v[48:49], off offset:16
	v_add_co_ci_u32_e64 v5, s0, 0, v232, s0
	global_load_b128 v[12:15], v[54:55], off offset:16
	v_add_co_u32 v24, s0, s4, v193
	s_delay_alu instid0(VALU_DEP_1) | instskip(SKIP_3) | instid1(VALU_DEP_1)
	v_add_co_ci_u32_e64 v25, s0, s5, v194, s0
	global_load_b128 v[16:19], v[38:39], off offset:512
	v_lshlrev_b64 v[185:186], 4, v[92:93]
	v_add_co_u32 v50, s0, 0x3000, v24
	v_add_co_ci_u32_e64 v51, s0, 0, v25, s0
	v_add_co_u32 v52, s0, 0x3200, v24
	s_delay_alu instid0(VALU_DEP_1) | instskip(SKIP_3) | instid1(VALU_DEP_1)
	v_add_co_ci_u32_e64 v53, s0, 0, v25, s0
	global_load_b128 v[24:27], v[36:37], off offset:512
	v_lshlrev_b32_e32 v92, 1, v116
	v_add_co_u32 v36, s0, s4, v185
	v_add_co_ci_u32_e64 v37, s0, s5, v186, s0
	s_clause 0x1
	global_load_b128 v[28:31], v[2:3], off offset:16
	global_load_b128 v[32:35], v[6:7], off offset:512
	v_lshlrev_b64 v[40:41], 4, v[92:93]
	v_add_co_u32 v2, s0, 0x3000, v36
	s_delay_alu instid0(VALU_DEP_1) | instskip(SKIP_1) | instid1(VALU_DEP_1)
	v_add_co_ci_u32_e64 v3, s0, 0, v37, s0
	v_add_co_u32 v6, s0, 0x3200, v36
	v_add_co_ci_u32_e64 v7, s0, 0, v37, s0
	global_load_b128 v[36:39], v[0:1], off offset:16
	v_add_co_u32 v46, s0, s4, v40
	s_delay_alu instid0(VALU_DEP_1) | instskip(SKIP_3) | instid1(VALU_DEP_1)
	v_add_co_ci_u32_e64 v47, s0, s5, v41, s0
	global_load_b128 v[40:43], v[209:210], off offset:512
	v_lshlrev_b32_e32 v92, 1, v115
	v_add_co_u32 v64, s0, 0x3000, v46
	v_add_co_ci_u32_e64 v65, s0, 0, v47, s0
	s_delay_alu instid0(VALU_DEP_3) | instskip(SKIP_1) | instid1(VALU_DEP_1)
	v_lshlrev_b64 v[44:45], 4, v[92:93]
	v_add_co_u32 v68, s0, 0x3200, v46
	v_add_co_ci_u32_e64 v69, s0, 0, v47, s0
	v_lshlrev_b32_e32 v92, 1, v114
	s_delay_alu instid0(VALU_DEP_4) | instskip(NEXT) | instid1(VALU_DEP_1)
	v_add_co_u32 v56, s0, s4, v44
	v_add_co_ci_u32_e64 v57, s0, s5, v45, s0
	global_load_b128 v[44:47], v[4:5], off offset:16
	v_lshlrev_b64 v[0:1], 4, v[92:93]
	v_add_co_u32 v4, s0, 0x3000, v56
	s_delay_alu instid0(VALU_DEP_1) | instskip(SKIP_1) | instid1(VALU_DEP_1)
	v_add_co_ci_u32_e64 v5, s0, 0, v57, s0
	v_add_co_u32 v76, s0, 0x3200, v56
	v_add_co_ci_u32_e64 v77, s0, 0, v57, s0
	s_clause 0x3
	global_load_b128 v[48:51], v[50:51], off offset:512
	global_load_b128 v[52:55], v[52:53], off offset:16
	;; [unrolled: 1-line block ×4, first 2 shown]
	v_add_co_u32 v2, s0, s4, v0
	s_delay_alu instid0(VALU_DEP_1) | instskip(SKIP_4) | instid1(VALU_DEP_1)
	v_add_co_ci_u32_e64 v3, s0, s5, v1, s0
	s_clause 0x1
	global_load_b128 v[64:67], v[64:65], off offset:512
	global_load_b128 v[68:71], v[68:69], off offset:16
	v_add_co_u32 v0, s0, 0x3000, v2
	v_add_co_ci_u32_e64 v1, s0, 0, v3, s0
	v_add_co_u32 v2, s0, 0x3200, v2
	s_delay_alu instid0(VALU_DEP_1)
	v_add_co_ci_u32_e64 v3, s0, 0, v3, s0
	s_clause 0x3
	global_load_b128 v[72:75], v[4:5], off offset:512
	global_load_b128 v[76:79], v[76:77], off offset:16
	;; [unrolled: 1-line block ×4, first 2 shown]
	ds_load_b128 v[4:7], v150 offset:12960
	ds_load_b128 v[88:91], v150 offset:25920
	ds_load_b128 v[94:97], v150 offset:14256
	ds_load_b128 v[98:101], v150 offset:27216
	ds_load_b128 v[102:105], v150 offset:15552
	ds_load_b128 v[0:3], v150
	ds_load_b128 v[122:125], v150 offset:28512
	ds_load_b128 v[126:129], v150 offset:24624
	;; [unrolled: 1-line block ×9, first 2 shown]
	s_waitcnt vmcnt(19) lgkmcnt(14)
	v_mul_f64 v[106:107], v[6:7], v[10:11]
	v_mul_f64 v[10:11], v[4:5], v[10:11]
	s_waitcnt vmcnt(18) lgkmcnt(11)
	v_mul_f64 v[177:178], v[100:101], v[22:23]
	v_mul_f64 v[22:23], v[98:99], v[22:23]
	s_waitcnt vmcnt(17)
	v_mul_f64 v[173:174], v[90:91], v[14:15]
	v_mul_f64 v[14:15], v[88:89], v[14:15]
	s_waitcnt vmcnt(16)
	v_mul_f64 v[175:176], v[96:97], v[18:19]
	v_mul_f64 v[18:19], v[94:95], v[18:19]
	s_waitcnt vmcnt(15) lgkmcnt(10)
	v_mul_f64 v[179:180], v[104:105], v[26:27]
	v_mul_f64 v[26:27], v[102:103], v[26:27]
	s_waitcnt vmcnt(14) lgkmcnt(8)
	v_mul_f64 v[181:182], v[124:125], v[30:31]
	s_waitcnt vmcnt(13) lgkmcnt(6)
	v_mul_f64 v[183:184], v[132:133], v[34:35]
	v_mul_f64 v[30:31], v[122:123], v[30:31]
	;; [unrolled: 1-line block ×3, first 2 shown]
	s_waitcnt vmcnt(12) lgkmcnt(4)
	v_mul_f64 v[185:186], v[136:137], v[38:39]
	v_mul_f64 v[38:39], v[134:135], v[38:39]
	v_fma_f64 v[106:107], v[4:5], v[8:9], -v[106:107]
	v_fma_f64 v[187:188], v[6:7], v[8:9], v[10:11]
	ds_load_b128 v[8:11], v150 offset:33696
	ds_load_b128 v[169:172], v150 offset:34992
	s_waitcnt vmcnt(11)
	v_mul_f64 v[189:190], v[140:141], v[42:43]
	v_fma_f64 v[173:174], v[88:89], v[12:13], -v[173:174]
	v_fma_f64 v[191:192], v[90:91], v[12:13], v[14:15]
	ds_load_b128 v[12:15], v150 offset:22032
	ds_load_b128 v[88:91], v150 offset:23328
	v_mul_f64 v[42:43], v[138:139], v[42:43]
	v_fma_f64 v[4:5], v[98:99], v[20:21], -v[177:178]
	v_fma_f64 v[175:176], v[94:95], v[16:17], -v[175:176]
	v_fma_f64 v[193:194], v[96:97], v[16:17], v[18:19]
	ds_load_b128 v[16:19], v150 offset:36288
	ds_load_b128 v[94:97], v150 offset:37584
	v_fma_f64 v[6:7], v[100:101], v[20:21], v[22:23]
	ds_load_b128 v[20:23], v159
	s_waitcnt vmcnt(10) lgkmcnt(10)
	v_mul_f64 v[98:99], v[144:145], v[46:47]
	v_mul_f64 v[46:47], v[142:143], v[46:47]
	v_fma_f64 v[100:101], v[102:103], v[24:25], -v[179:180]
	v_fma_f64 v[102:103], v[104:105], v[24:25], v[26:27]
	v_fma_f64 v[122:123], v[122:123], v[28:29], -v[181:182]
	v_fma_f64 v[130:131], v[130:131], v[32:33], -v[183:184]
	v_fma_f64 v[124:125], v[124:125], v[28:29], v[30:31]
	s_waitcnt vmcnt(9) lgkmcnt(9)
	v_mul_f64 v[104:105], v[148:149], v[50:51]
	v_mul_f64 v[50:51], v[146:147], v[50:51]
	s_waitcnt vmcnt(8) lgkmcnt(7)
	v_mul_f64 v[177:178], v[167:168], v[54:55]
	v_mul_f64 v[54:55], v[165:166], v[54:55]
	s_waitcnt vmcnt(7)
	v_mul_f64 v[179:180], v[163:164], v[58:59]
	v_mul_f64 v[58:59], v[161:162], v[58:59]
	s_waitcnt vmcnt(6) lgkmcnt(6)
	v_mul_f64 v[181:182], v[10:11], v[62:63]
	v_mul_f64 v[62:63], v[8:9], v[62:63]
	s_waitcnt vmcnt(5) lgkmcnt(4)
	v_mul_f64 v[183:184], v[14:15], v[66:67]
	v_mul_f64 v[66:67], v[12:13], v[66:67]
	s_waitcnt vmcnt(4)
	v_mul_f64 v[195:196], v[171:172], v[70:71]
	v_mul_f64 v[70:71], v[169:170], v[70:71]
	v_fma_f64 v[134:135], v[134:135], v[36:37], -v[185:186]
	v_fma_f64 v[138:139], v[138:139], v[40:41], -v[189:190]
	v_fma_f64 v[132:133], v[132:133], v[32:33], v[34:35]
	s_waitcnt vmcnt(3) lgkmcnt(3)
	v_mul_f64 v[185:186], v[90:91], v[74:75]
	v_mul_f64 v[74:75], v[88:89], v[74:75]
	s_waitcnt vmcnt(2) lgkmcnt(2)
	v_mul_f64 v[197:198], v[18:19], v[78:79]
	v_mul_f64 v[78:79], v[16:17], v[78:79]
	s_waitcnt vmcnt(1)
	v_mul_f64 v[189:190], v[128:129], v[82:83]
	v_mul_f64 v[82:83], v[126:127], v[82:83]
	s_waitcnt vmcnt(0) lgkmcnt(1)
	v_mul_f64 v[199:200], v[96:97], v[86:87]
	v_mul_f64 v[86:87], v[94:95], v[86:87]
	v_fma_f64 v[136:137], v[136:137], v[36:37], v[38:39]
	v_fma_f64 v[140:141], v[140:141], v[40:41], v[42:43]
	ds_load_b128 v[24:27], v111
	ds_load_b128 v[28:31], v160
	ds_load_b128 v[32:35], v158
	ds_load_b128 v[36:39], v157
	v_fma_f64 v[98:99], v[142:143], v[44:45], -v[98:99]
	v_fma_f64 v[142:143], v[144:145], v[44:45], v[46:47]
	ds_load_b128 v[40:43], v156
	ds_load_b128 v[44:47], v154
	v_fma_f64 v[104:105], v[146:147], v[48:49], -v[104:105]
	v_fma_f64 v[144:145], v[148:149], v[48:49], v[50:51]
	v_fma_f64 v[146:147], v[165:166], v[52:53], -v[177:178]
	v_fma_f64 v[148:149], v[167:168], v[52:53], v[54:55]
	v_fma_f64 v[161:162], v[161:162], v[56:57], -v[179:180]
	v_fma_f64 v[56:57], v[163:164], v[56:57], v[58:59]
	v_fma_f64 v[58:59], v[8:9], v[60:61], -v[181:182]
	v_fma_f64 v[60:61], v[10:11], v[60:61], v[62:63]
	v_fma_f64 v[12:13], v[12:13], v[64:65], -v[183:184]
	v_fma_f64 v[14:15], v[14:15], v[64:65], v[66:67]
	v_fma_f64 v[62:63], v[169:170], v[68:69], -v[195:196]
	v_fma_f64 v[64:65], v[171:172], v[68:69], v[70:71]
	v_add_f64 v[8:9], v[106:107], v[173:174]
	v_add_f64 v[10:11], v[187:188], v[191:192]
	;; [unrolled: 1-line block ×3, first 2 shown]
	v_fma_f64 v[66:67], v[88:89], v[72:73], -v[185:186]
	v_fma_f64 v[68:69], v[90:91], v[72:73], v[74:75]
	v_fma_f64 v[70:71], v[16:17], v[76:77], -v[197:198]
	v_fma_f64 v[72:73], v[18:19], v[76:77], v[78:79]
	v_add_f64 v[76:77], v[2:3], v[187:188]
	v_add_f64 v[78:79], v[0:1], v[106:107]
	v_fma_f64 v[16:17], v[126:127], v[80:81], -v[189:190]
	v_fma_f64 v[18:19], v[128:129], v[80:81], v[82:83]
	v_fma_f64 v[74:75], v[94:95], v[84:85], -v[199:200]
	v_fma_f64 v[80:81], v[96:97], v[84:85], v[86:87]
	v_add_f64 v[82:83], v[175:176], v[4:5]
	v_add_f64 v[84:85], v[193:194], v[6:7]
	v_add_f64 v[94:95], v[106:107], -v[173:174]
	v_add_f64 v[96:97], v[100:101], v[122:123]
	v_add_f64 v[106:107], v[102:103], v[124:125]
	s_waitcnt lgkmcnt(5)
	v_add_f64 v[88:89], v[24:25], v[175:176]
	v_add_f64 v[169:170], v[132:133], v[136:137]
	;; [unrolled: 1-line block ×3, first 2 shown]
	v_add_f64 v[128:129], v[175:176], -v[4:5]
	s_waitcnt lgkmcnt(4)
	v_add_f64 v[163:164], v[30:31], v[102:103]
	v_add_f64 v[165:166], v[28:29], v[100:101]
	;; [unrolled: 1-line block ×6, first 2 shown]
	v_add_f64 v[90:91], v[187:188], -v[191:192]
	s_waitcnt lgkmcnt(3)
	v_add_f64 v[181:182], v[34:35], v[140:141]
	v_add_f64 v[183:184], v[32:33], v[138:139]
	;; [unrolled: 1-line block ×4, first 2 shown]
	v_add_f64 v[126:127], v[193:194], -v[6:7]
	s_waitcnt lgkmcnt(2)
	v_add_f64 v[189:190], v[38:39], v[144:145]
	v_add_f64 v[193:194], v[36:37], v[104:105]
	;; [unrolled: 1-line block ×6, first 2 shown]
	v_fma_f64 v[203:204], v[8:9], -0.5, v[0:1]
	v_fma_f64 v[205:206], v[10:11], -0.5, v[2:3]
	ds_load_b128 v[48:51], v155
	ds_load_b128 v[52:55], v153
	v_add_f64 v[102:103], v[102:103], -v[124:125]
	v_add_f64 v[100:101], v[100:101], -v[122:123]
	v_add_f64 v[2:3], v[76:77], v[191:192]
	v_add_f64 v[0:1], v[78:79], v[173:174]
	;; [unrolled: 1-line block ×6, first 2 shown]
	v_fma_f64 v[82:83], v[82:83], -0.5, v[24:25]
	v_fma_f64 v[84:85], v[84:85], -0.5, v[26:27]
	s_waitcnt lgkmcnt(3)
	v_add_f64 v[201:202], v[40:41], v[161:162]
	v_fma_f64 v[96:97], v[96:97], -0.5, v[28:29]
	v_fma_f64 v[106:107], v[106:107], -0.5, v[30:31]
	v_add_f64 v[199:200], v[42:43], v[56:57]
	s_waitcnt lgkmcnt(2)
	v_add_f64 v[78:79], v[44:45], v[12:13]
	v_add_f64 v[132:133], v[132:133], -v[136:137]
	v_add_f64 v[76:77], v[46:47], v[14:15]
	v_add_f64 v[4:5], v[88:89], v[4:5]
	s_waitcnt lgkmcnt(1)
	v_add_f64 v[88:89], v[48:49], v[66:67]
	v_add_f64 v[130:131], v[130:131], -v[134:135]
	v_add_f64 v[219:220], v[66:67], -v[70:71]
	v_fma_f64 v[66:67], v[167:168], -0.5, v[20:21]
	v_fma_f64 v[167:168], v[169:170], -0.5, v[22:23]
	v_add_f64 v[6:7], v[86:87], v[6:7]
	v_add_f64 v[86:87], v[50:51], v[68:69]
	;; [unrolled: 1-line block ×4, first 2 shown]
	s_waitcnt lgkmcnt(0)
	v_add_f64 v[124:125], v[52:53], v[16:17]
	v_add_f64 v[140:141], v[140:141], -v[142:143]
	v_add_f64 v[138:139], v[138:139], -v[98:99]
	;; [unrolled: 1-line block ×4, first 2 shown]
	v_add_f64 v[14:15], v[171:172], v[136:137]
	v_add_f64 v[12:13], v[175:176], v[134:135]
	v_fma_f64 v[134:135], v[177:178], -0.5, v[32:33]
	v_fma_f64 v[136:137], v[179:180], -0.5, v[34:35]
	v_add_f64 v[122:123], v[54:55], v[18:19]
	v_add_f64 v[144:145], v[144:145], -v[148:149]
	v_add_f64 v[104:105], v[104:105], -v[146:147]
	;; [unrolled: 1-line block ×4, first 2 shown]
	v_add_f64 v[18:19], v[181:182], v[142:143]
	v_add_f64 v[16:17], v[183:184], v[98:99]
	v_fma_f64 v[98:99], v[185:186], -0.5, v[36:37]
	v_fma_f64 v[142:143], v[187:188], -0.5, v[38:39]
	v_add_f64 v[163:164], v[56:57], -v[60:61]
	v_add_f64 v[161:162], v[161:162], -v[58:59]
	v_add_f64 v[22:23], v[189:190], v[148:149]
	v_add_f64 v[20:21], v[193:194], v[146:147]
	v_fma_f64 v[146:147], v[195:196], -0.5, v[40:41]
	v_fma_f64 v[148:149], v[197:198], -0.5, v[42:43]
	;; [unrolled: 1-line block ×4, first 2 shown]
	v_add_f64 v[217:218], v[68:69], -v[72:73]
	v_fma_f64 v[173:174], v[173:174], -0.5, v[48:49]
	v_fma_f64 v[175:176], v[191:192], -0.5, v[50:51]
	;; [unrolled: 1-line block ×4, first 2 shown]
	v_fma_f64 v[40:41], v[90:91], s[2:3], v[203:204]
	v_fma_f64 v[42:43], v[94:95], s[6:7], v[205:206]
	;; [unrolled: 1-line block ×8, first 2 shown]
	v_add_f64 v[24:25], v[201:202], v[58:59]
	v_fma_f64 v[56:57], v[102:103], s[2:3], v[96:97]
	v_fma_f64 v[58:59], v[100:101], s[6:7], v[106:107]
	v_add_f64 v[26:27], v[199:200], v[60:61]
	v_add_f64 v[28:29], v[78:79], v[62:63]
	v_fma_f64 v[60:61], v[102:103], s[6:7], v[96:97]
	v_fma_f64 v[62:63], v[100:101], s[2:3], v[106:107]
	v_add_f64 v[30:31], v[76:77], v[64:65]
	v_fma_f64 v[64:65], v[132:133], s[2:3], v[66:67]
	v_fma_f64 v[68:69], v[132:133], s[6:7], v[66:67]
	;; [unrolled: 1-line block ×3, first 2 shown]
	v_add_f64 v[32:33], v[88:89], v[70:71]
	v_fma_f64 v[70:71], v[130:131], s[2:3], v[167:168]
	v_add_f64 v[34:35], v[86:87], v[72:73]
	v_add_f64 v[36:37], v[124:125], v[74:75]
	v_fma_f64 v[72:73], v[140:141], s[2:3], v[134:135]
	v_fma_f64 v[74:75], v[138:139], s[6:7], v[136:137]
	;; [unrolled: 1-line block ×4, first 2 shown]
	v_add_f64 v[38:39], v[122:123], v[80:81]
	v_fma_f64 v[80:81], v[144:145], s[2:3], v[98:99]
	v_fma_f64 v[82:83], v[104:105], s[6:7], v[142:143]
	v_fma_f64 v[84:85], v[144:145], s[6:7], v[98:99]
	v_fma_f64 v[86:87], v[104:105], s[2:3], v[142:143]
	v_fma_f64 v[88:89], v[163:164], s[2:3], v[146:147]
	v_fma_f64 v[90:91], v[161:162], s[6:7], v[148:149]
	v_fma_f64 v[94:95], v[163:164], s[6:7], v[146:147]
	v_fma_f64 v[96:97], v[161:162], s[2:3], v[148:149]
	v_fma_f64 v[98:99], v[165:166], s[2:3], v[169:170]
	v_fma_f64 v[100:101], v[215:216], s[6:7], v[171:172]
	v_fma_f64 v[102:103], v[165:166], s[6:7], v[169:170]
	v_fma_f64 v[104:105], v[215:216], s[2:3], v[171:172]
	v_fma_f64 v[122:123], v[217:218], s[2:3], v[173:174]
	v_fma_f64 v[124:125], v[219:220], s[6:7], v[175:176]
	v_fma_f64 v[126:127], v[217:218], s[6:7], v[173:174]
	v_fma_f64 v[128:129], v[219:220], s[2:3], v[175:176]
	v_fma_f64 v[130:131], v[221:222], s[2:3], v[177:178]
	v_fma_f64 v[132:133], v[223:224], s[6:7], v[179:180]
	v_fma_f64 v[134:135], v[221:222], s[6:7], v[177:178]
	v_fma_f64 v[136:137], v[223:224], s[2:3], v[179:180]
	s_barrier
	buffer_gl0_inv
	ds_store_b128 v150, v[0:3]
	ds_store_b128 v150, v[40:43] offset:12960
	ds_store_b128 v150, v[44:47] offset:25920
	ds_store_b128 v111, v[4:7]
	ds_store_b128 v111, v[48:51] offset:12960
	ds_store_b128 v111, v[52:55] offset:25920
	;; [unrolled: 3-line block ×10, first 2 shown]
	s_waitcnt lgkmcnt(0)
	s_barrier
	buffer_gl0_inv
	ds_load_b128 v[4:7], v150
	v_sub_nc_u32_e32 v10, 0, v109
	s_addc_u32 s2, s5, 0
	s_mov_b32 s3, exec_lo
                                        ; implicit-def: $vgpr2_vgpr3
                                        ; implicit-def: $vgpr8_vgpr9
	v_cmpx_ne_u32_e32 0, v108
	s_xor_b32 s3, exec_lo, s3
	s_cbranch_execz .LBB0_15
; %bb.14:
	v_mov_b32_e32 v109, v93
	s_delay_alu instid0(VALU_DEP_1) | instskip(NEXT) | instid1(VALU_DEP_1)
	v_lshlrev_b64 v[0:1], 4, v[108:109]
	v_add_co_u32 v0, s0, s1, v0
	s_delay_alu instid0(VALU_DEP_1)
	v_add_co_ci_u32_e64 v1, s0, s2, v1, s0
	global_load_b128 v[11:14], v[0:1], off
	ds_load_b128 v[0:3], v10 offset:38880
	s_waitcnt lgkmcnt(0)
	v_add_f64 v[8:9], v[4:5], -v[0:1]
	v_add_f64 v[15:16], v[6:7], v[2:3]
	v_add_f64 v[2:3], v[6:7], -v[2:3]
	v_add_f64 v[0:1], v[4:5], v[0:1]
	s_delay_alu instid0(VALU_DEP_4) | instskip(NEXT) | instid1(VALU_DEP_4)
	v_mul_f64 v[6:7], v[8:9], 0.5
	v_mul_f64 v[4:5], v[15:16], 0.5
	s_delay_alu instid0(VALU_DEP_4) | instskip(SKIP_1) | instid1(VALU_DEP_3)
	v_mul_f64 v[2:3], v[2:3], 0.5
	s_waitcnt vmcnt(0)
	v_mul_f64 v[8:9], v[6:7], v[13:14]
	s_delay_alu instid0(VALU_DEP_2) | instskip(SKIP_1) | instid1(VALU_DEP_3)
	v_fma_f64 v[15:16], v[4:5], v[13:14], v[2:3]
	v_fma_f64 v[2:3], v[4:5], v[13:14], -v[2:3]
	v_fma_f64 v[17:18], v[0:1], 0.5, v[8:9]
	v_fma_f64 v[0:1], v[0:1], 0.5, -v[8:9]
	s_delay_alu instid0(VALU_DEP_4) | instskip(NEXT) | instid1(VALU_DEP_4)
	v_fma_f64 v[8:9], -v[11:12], v[6:7], v[15:16]
	v_fma_f64 v[2:3], -v[11:12], v[6:7], v[2:3]
	s_delay_alu instid0(VALU_DEP_4) | instskip(NEXT) | instid1(VALU_DEP_4)
	v_fma_f64 v[13:14], v[4:5], v[11:12], v[17:18]
	v_fma_f64 v[0:1], -v[4:5], v[11:12], v[0:1]
                                        ; implicit-def: $vgpr4_vgpr5
	ds_store_b64 v150, v[13:14]
.LBB0_15:
	s_or_saveexec_b32 s0, s3
	v_mul_i32_i24_e32 v12, 0xffffff70, v110
	v_mul_i32_i24_e32 v11, 0xffffff70, v121
	s_xor_b32 exec_lo, exec_lo, s0
	s_cbranch_execz .LBB0_17
; %bb.16:
	s_waitcnt lgkmcnt(0)
	v_add_f64 v[13:14], v[4:5], v[6:7]
	v_add_f64 v[0:1], v[4:5], -v[6:7]
	v_mov_b32_e32 v6, 0
	v_mov_b32_e32 v8, 0
	;; [unrolled: 1-line block ×3, first 2 shown]
	s_delay_alu instid0(VALU_DEP_2)
	v_mov_b32_e32 v2, v8
	ds_load_b64 v[4:5], v6 offset:19448
	v_mov_b32_e32 v3, v9
	s_waitcnt lgkmcnt(0)
	v_xor_b32_e32 v5, 0x80000000, v5
	ds_store_b64 v150, v[13:14]
	ds_store_b64 v6, v[4:5] offset:19448
.LBB0_17:
	s_or_b32 exec_lo, exec_lo, s0
	v_dual_mov_b32 v111, 0 :: v_dual_add_nc_u32 v12, v152, v12
	s_waitcnt lgkmcnt(0)
	s_delay_alu instid0(VALU_DEP_1) | instskip(SKIP_2) | instid1(VALU_DEP_2)
	v_lshlrev_b64 v[4:5], 4, v[110:111]
	v_mov_b32_e32 v122, v111
	v_add_nc_u32_e32 v110, 0x32a, v108
	v_lshlrev_b64 v[13:14], 4, v[121:122]
	s_delay_alu instid0(VALU_DEP_4) | instskip(NEXT) | instid1(VALU_DEP_1)
	v_add_co_u32 v4, s0, s1, v4
	v_add_co_ci_u32_e64 v5, s0, s2, v5, s0
	v_mov_b32_e32 v121, v111
	s_delay_alu instid0(VALU_DEP_4)
	v_add_co_u32 v13, s0, s1, v13
	global_load_b128 v[4:7], v[4:5], off
	v_add_co_ci_u32_e64 v14, s0, s2, v14, s0
	global_load_b128 v[13:16], v[13:14], off
	ds_store_b64 v150, v[8:9] offset:8
	ds_store_b128 v10, v[0:3] offset:38880
	ds_load_b128 v[0:3], v12
	ds_load_b128 v[17:20], v10 offset:37584
	s_waitcnt lgkmcnt(0)
	v_add_f64 v[8:9], v[0:1], -v[17:18]
	v_add_f64 v[21:22], v[2:3], v[19:20]
	v_add_f64 v[2:3], v[2:3], -v[19:20]
	v_add_f64 v[0:1], v[0:1], v[17:18]
	s_delay_alu instid0(VALU_DEP_4) | instskip(NEXT) | instid1(VALU_DEP_4)
	v_mul_f64 v[8:9], v[8:9], 0.5
	v_mul_f64 v[19:20], v[21:22], 0.5
	s_delay_alu instid0(VALU_DEP_4) | instskip(SKIP_1) | instid1(VALU_DEP_3)
	v_mul_f64 v[2:3], v[2:3], 0.5
	s_waitcnt vmcnt(1)
	v_mul_f64 v[17:18], v[8:9], v[6:7]
	s_delay_alu instid0(VALU_DEP_2) | instskip(SKIP_1) | instid1(VALU_DEP_3)
	v_fma_f64 v[21:22], v[19:20], v[6:7], v[2:3]
	v_fma_f64 v[6:7], v[19:20], v[6:7], -v[2:3]
	v_fma_f64 v[23:24], v[0:1], 0.5, v[17:18]
	v_fma_f64 v[17:18], v[0:1], 0.5, -v[17:18]
	s_delay_alu instid0(VALU_DEP_4) | instskip(NEXT) | instid1(VALU_DEP_4)
	v_fma_f64 v[2:3], -v[4:5], v[8:9], v[21:22]
	v_fma_f64 v[6:7], -v[4:5], v[8:9], v[6:7]
	v_lshlrev_b64 v[8:9], 4, v[120:121]
	v_mov_b32_e32 v120, v111
	s_delay_alu instid0(VALU_DEP_2) | instskip(NEXT) | instid1(VALU_DEP_1)
	v_add_co_u32 v8, s0, s1, v8
	v_add_co_ci_u32_e64 v9, s0, s2, v9, s0
	v_fma_f64 v[0:1], v[19:20], v[4:5], v[23:24]
	v_fma_f64 v[4:5], -v[19:20], v[4:5], v[17:18]
	global_load_b128 v[17:20], v[8:9], off
	v_add_nc_u32_e32 v23, v151, v11
	ds_store_b128 v12, v[0:3]
	ds_store_b128 v10, v[4:7] offset:37584
	ds_load_b128 v[0:3], v23
	ds_load_b128 v[4:7], v10 offset:36288
	s_waitcnt lgkmcnt(0)
	v_add_f64 v[8:9], v[0:1], -v[4:5]
	v_add_f64 v[11:12], v[2:3], v[6:7]
	v_add_f64 v[2:3], v[2:3], -v[6:7]
	v_add_f64 v[0:1], v[0:1], v[4:5]
	s_delay_alu instid0(VALU_DEP_4) | instskip(NEXT) | instid1(VALU_DEP_4)
	v_mul_f64 v[6:7], v[8:9], 0.5
	v_mul_f64 v[8:9], v[11:12], 0.5
	s_delay_alu instid0(VALU_DEP_4) | instskip(SKIP_1) | instid1(VALU_DEP_3)
	v_mul_f64 v[2:3], v[2:3], 0.5
	s_waitcnt vmcnt(1)
	v_mul_f64 v[4:5], v[6:7], v[15:16]
	s_delay_alu instid0(VALU_DEP_2) | instskip(SKIP_1) | instid1(VALU_DEP_3)
	v_fma_f64 v[11:12], v[8:9], v[15:16], v[2:3]
	v_fma_f64 v[15:16], v[8:9], v[15:16], -v[2:3]
	v_fma_f64 v[21:22], v[0:1], 0.5, v[4:5]
	v_fma_f64 v[4:5], v[0:1], 0.5, -v[4:5]
	s_delay_alu instid0(VALU_DEP_4) | instskip(NEXT) | instid1(VALU_DEP_4)
	v_fma_f64 v[2:3], -v[13:14], v[6:7], v[11:12]
	v_fma_f64 v[6:7], -v[13:14], v[6:7], v[15:16]
	s_delay_alu instid0(VALU_DEP_4) | instskip(NEXT) | instid1(VALU_DEP_4)
	v_fma_f64 v[0:1], v[8:9], v[13:14], v[21:22]
	v_fma_f64 v[4:5], -v[8:9], v[13:14], v[4:5]
	v_lshlrev_b64 v[8:9], 4, v[119:120]
	v_mov_b32_e32 v119, v111
	s_delay_alu instid0(VALU_DEP_2) | instskip(NEXT) | instid1(VALU_DEP_1)
	v_add_co_u32 v8, s0, s1, v8
	v_add_co_ci_u32_e64 v9, s0, s2, v9, s0
	global_load_b128 v[11:14], v[8:9], off
	ds_store_b128 v23, v[0:3]
	ds_store_b128 v10, v[4:7] offset:36288
	ds_load_b128 v[0:3], v159
	ds_load_b128 v[4:7], v10 offset:34992
	s_waitcnt lgkmcnt(0)
	v_add_f64 v[8:9], v[0:1], -v[4:5]
	v_add_f64 v[15:16], v[2:3], v[6:7]
	v_add_f64 v[2:3], v[2:3], -v[6:7]
	v_add_f64 v[0:1], v[0:1], v[4:5]
	s_delay_alu instid0(VALU_DEP_4) | instskip(NEXT) | instid1(VALU_DEP_4)
	v_mul_f64 v[6:7], v[8:9], 0.5
	v_mul_f64 v[8:9], v[15:16], 0.5
	s_delay_alu instid0(VALU_DEP_4) | instskip(SKIP_1) | instid1(VALU_DEP_3)
	v_mul_f64 v[2:3], v[2:3], 0.5
	s_waitcnt vmcnt(1)
	v_mul_f64 v[4:5], v[6:7], v[19:20]
	s_delay_alu instid0(VALU_DEP_2) | instskip(SKIP_1) | instid1(VALU_DEP_3)
	v_fma_f64 v[15:16], v[8:9], v[19:20], v[2:3]
	v_fma_f64 v[19:20], v[8:9], v[19:20], -v[2:3]
	v_fma_f64 v[21:22], v[0:1], 0.5, v[4:5]
	v_fma_f64 v[4:5], v[0:1], 0.5, -v[4:5]
	s_delay_alu instid0(VALU_DEP_4) | instskip(NEXT) | instid1(VALU_DEP_4)
	v_fma_f64 v[2:3], -v[17:18], v[6:7], v[15:16]
	v_fma_f64 v[6:7], -v[17:18], v[6:7], v[19:20]
	s_delay_alu instid0(VALU_DEP_4) | instskip(NEXT) | instid1(VALU_DEP_4)
	v_fma_f64 v[0:1], v[8:9], v[17:18], v[21:22]
	v_fma_f64 v[4:5], -v[8:9], v[17:18], v[4:5]
	v_lshlrev_b64 v[8:9], 4, v[118:119]
	v_mov_b32_e32 v118, v111
	s_delay_alu instid0(VALU_DEP_2) | instskip(NEXT) | instid1(VALU_DEP_1)
	v_add_co_u32 v8, s0, s1, v8
	v_add_co_ci_u32_e64 v9, s0, s2, v9, s0
	global_load_b128 v[15:18], v[8:9], off
	ds_store_b128 v159, v[0:3]
	ds_store_b128 v10, v[4:7] offset:34992
	ds_load_b128 v[0:3], v158
	ds_load_b128 v[4:7], v10 offset:33696
	s_waitcnt lgkmcnt(0)
	v_add_f64 v[8:9], v[0:1], -v[4:5]
	v_add_f64 v[19:20], v[2:3], v[6:7]
	v_add_f64 v[2:3], v[2:3], -v[6:7]
	v_add_f64 v[0:1], v[0:1], v[4:5]
	s_delay_alu instid0(VALU_DEP_4) | instskip(NEXT) | instid1(VALU_DEP_4)
	v_mul_f64 v[6:7], v[8:9], 0.5
	v_mul_f64 v[8:9], v[19:20], 0.5
	s_delay_alu instid0(VALU_DEP_4) | instskip(SKIP_1) | instid1(VALU_DEP_3)
	v_mul_f64 v[2:3], v[2:3], 0.5
	s_waitcnt vmcnt(1)
	v_mul_f64 v[4:5], v[6:7], v[13:14]
	s_delay_alu instid0(VALU_DEP_2) | instskip(SKIP_1) | instid1(VALU_DEP_3)
	v_fma_f64 v[19:20], v[8:9], v[13:14], v[2:3]
	v_fma_f64 v[13:14], v[8:9], v[13:14], -v[2:3]
	v_fma_f64 v[21:22], v[0:1], 0.5, v[4:5]
	v_fma_f64 v[4:5], v[0:1], 0.5, -v[4:5]
	s_delay_alu instid0(VALU_DEP_4) | instskip(NEXT) | instid1(VALU_DEP_4)
	v_fma_f64 v[2:3], -v[11:12], v[6:7], v[19:20]
	v_fma_f64 v[6:7], -v[11:12], v[6:7], v[13:14]
	s_delay_alu instid0(VALU_DEP_4) | instskip(NEXT) | instid1(VALU_DEP_4)
	v_fma_f64 v[0:1], v[8:9], v[11:12], v[21:22]
	v_fma_f64 v[4:5], -v[8:9], v[11:12], v[4:5]
	v_lshlrev_b64 v[8:9], 4, v[117:118]
	v_mov_b32_e32 v117, v111
	s_delay_alu instid0(VALU_DEP_2) | instskip(NEXT) | instid1(VALU_DEP_1)
	v_add_co_u32 v8, s0, s1, v8
	v_add_co_ci_u32_e64 v9, s0, s2, v9, s0
	global_load_b128 v[11:14], v[8:9], off
	ds_store_b128 v158, v[0:3]
	ds_store_b128 v10, v[4:7] offset:33696
	ds_load_b128 v[0:3], v157
	ds_load_b128 v[4:7], v10 offset:32400
	s_waitcnt lgkmcnt(0)
	v_add_f64 v[8:9], v[0:1], -v[4:5]
	v_add_f64 v[19:20], v[2:3], v[6:7]
	v_add_f64 v[2:3], v[2:3], -v[6:7]
	v_add_f64 v[0:1], v[0:1], v[4:5]
	s_delay_alu instid0(VALU_DEP_4) | instskip(NEXT) | instid1(VALU_DEP_4)
	v_mul_f64 v[6:7], v[8:9], 0.5
	v_mul_f64 v[8:9], v[19:20], 0.5
	s_delay_alu instid0(VALU_DEP_4) | instskip(SKIP_1) | instid1(VALU_DEP_3)
	v_mul_f64 v[2:3], v[2:3], 0.5
	s_waitcnt vmcnt(1)
	v_mul_f64 v[4:5], v[6:7], v[17:18]
	s_delay_alu instid0(VALU_DEP_2) | instskip(SKIP_1) | instid1(VALU_DEP_3)
	v_fma_f64 v[19:20], v[8:9], v[17:18], v[2:3]
	v_fma_f64 v[17:18], v[8:9], v[17:18], -v[2:3]
	v_fma_f64 v[21:22], v[0:1], 0.5, v[4:5]
	v_fma_f64 v[4:5], v[0:1], 0.5, -v[4:5]
	s_delay_alu instid0(VALU_DEP_4) | instskip(NEXT) | instid1(VALU_DEP_4)
	v_fma_f64 v[2:3], -v[15:16], v[6:7], v[19:20]
	v_fma_f64 v[6:7], -v[15:16], v[6:7], v[17:18]
	s_delay_alu instid0(VALU_DEP_4) | instskip(NEXT) | instid1(VALU_DEP_4)
	v_fma_f64 v[0:1], v[8:9], v[15:16], v[21:22]
	v_fma_f64 v[4:5], -v[8:9], v[15:16], v[4:5]
	v_lshlrev_b64 v[8:9], 4, v[116:117]
	v_mov_b32_e32 v116, v111
	s_delay_alu instid0(VALU_DEP_2) | instskip(NEXT) | instid1(VALU_DEP_1)
	v_add_co_u32 v8, s0, s1, v8
	v_add_co_ci_u32_e64 v9, s0, s2, v9, s0
	global_load_b128 v[15:18], v[8:9], off
	ds_store_b128 v157, v[0:3]
	ds_store_b128 v10, v[4:7] offset:32400
	ds_load_b128 v[0:3], v156
	ds_load_b128 v[4:7], v10 offset:31104
	s_waitcnt lgkmcnt(0)
	v_add_f64 v[8:9], v[0:1], -v[4:5]
	v_add_f64 v[19:20], v[2:3], v[6:7]
	v_add_f64 v[2:3], v[2:3], -v[6:7]
	v_add_f64 v[0:1], v[0:1], v[4:5]
	s_delay_alu instid0(VALU_DEP_4) | instskip(NEXT) | instid1(VALU_DEP_4)
	v_mul_f64 v[6:7], v[8:9], 0.5
	v_mul_f64 v[8:9], v[19:20], 0.5
	s_delay_alu instid0(VALU_DEP_4) | instskip(SKIP_1) | instid1(VALU_DEP_3)
	v_mul_f64 v[2:3], v[2:3], 0.5
	s_waitcnt vmcnt(1)
	v_mul_f64 v[4:5], v[6:7], v[13:14]
	s_delay_alu instid0(VALU_DEP_2) | instskip(SKIP_1) | instid1(VALU_DEP_3)
	v_fma_f64 v[19:20], v[8:9], v[13:14], v[2:3]
	v_fma_f64 v[13:14], v[8:9], v[13:14], -v[2:3]
	v_fma_f64 v[21:22], v[0:1], 0.5, v[4:5]
	v_fma_f64 v[4:5], v[0:1], 0.5, -v[4:5]
	s_delay_alu instid0(VALU_DEP_4) | instskip(NEXT) | instid1(VALU_DEP_4)
	v_fma_f64 v[2:3], -v[11:12], v[6:7], v[19:20]
	v_fma_f64 v[6:7], -v[11:12], v[6:7], v[13:14]
	s_delay_alu instid0(VALU_DEP_4) | instskip(NEXT) | instid1(VALU_DEP_4)
	v_fma_f64 v[0:1], v[8:9], v[11:12], v[21:22]
	v_fma_f64 v[4:5], -v[8:9], v[11:12], v[4:5]
	v_lshlrev_b64 v[8:9], 4, v[115:116]
	v_mov_b32_e32 v115, v111
	s_delay_alu instid0(VALU_DEP_2) | instskip(NEXT) | instid1(VALU_DEP_1)
	v_add_co_u32 v8, s0, s1, v8
	v_add_co_ci_u32_e64 v9, s0, s2, v9, s0
	global_load_b128 v[11:14], v[8:9], off
	ds_store_b128 v156, v[0:3]
	ds_store_b128 v10, v[4:7] offset:31104
	ds_load_b128 v[0:3], v154
	ds_load_b128 v[4:7], v10 offset:29808
	s_waitcnt lgkmcnt(0)
	v_add_f64 v[8:9], v[0:1], -v[4:5]
	v_add_f64 v[19:20], v[2:3], v[6:7]
	v_add_f64 v[2:3], v[2:3], -v[6:7]
	v_add_f64 v[0:1], v[0:1], v[4:5]
	s_delay_alu instid0(VALU_DEP_4) | instskip(NEXT) | instid1(VALU_DEP_4)
	v_mul_f64 v[6:7], v[8:9], 0.5
	v_mul_f64 v[8:9], v[19:20], 0.5
	s_delay_alu instid0(VALU_DEP_4) | instskip(SKIP_1) | instid1(VALU_DEP_3)
	v_mul_f64 v[2:3], v[2:3], 0.5
	s_waitcnt vmcnt(1)
	v_mul_f64 v[4:5], v[6:7], v[17:18]
	s_delay_alu instid0(VALU_DEP_2) | instskip(SKIP_1) | instid1(VALU_DEP_3)
	v_fma_f64 v[19:20], v[8:9], v[17:18], v[2:3]
	v_fma_f64 v[17:18], v[8:9], v[17:18], -v[2:3]
	v_fma_f64 v[21:22], v[0:1], 0.5, v[4:5]
	v_fma_f64 v[4:5], v[0:1], 0.5, -v[4:5]
	s_delay_alu instid0(VALU_DEP_4) | instskip(NEXT) | instid1(VALU_DEP_4)
	v_fma_f64 v[2:3], -v[15:16], v[6:7], v[19:20]
	v_fma_f64 v[6:7], -v[15:16], v[6:7], v[17:18]
	s_delay_alu instid0(VALU_DEP_4) | instskip(NEXT) | instid1(VALU_DEP_4)
	v_fma_f64 v[0:1], v[8:9], v[15:16], v[21:22]
	v_fma_f64 v[4:5], -v[8:9], v[15:16], v[4:5]
	v_lshlrev_b64 v[8:9], 4, v[114:115]
	s_delay_alu instid0(VALU_DEP_1) | instskip(NEXT) | instid1(VALU_DEP_1)
	v_add_co_u32 v8, s0, s1, v8
	v_add_co_ci_u32_e64 v9, s0, s2, v9, s0
	global_load_b128 v[15:18], v[8:9], off
	ds_store_b128 v154, v[0:3]
	ds_store_b128 v10, v[4:7] offset:29808
	ds_load_b128 v[0:3], v155
	ds_load_b128 v[4:7], v10 offset:28512
	s_waitcnt lgkmcnt(0)
	v_add_f64 v[8:9], v[0:1], -v[4:5]
	v_add_f64 v[19:20], v[2:3], v[6:7]
	v_add_f64 v[2:3], v[2:3], -v[6:7]
	v_add_f64 v[0:1], v[0:1], v[4:5]
	s_delay_alu instid0(VALU_DEP_4) | instskip(NEXT) | instid1(VALU_DEP_4)
	v_mul_f64 v[6:7], v[8:9], 0.5
	v_mul_f64 v[8:9], v[19:20], 0.5
	s_delay_alu instid0(VALU_DEP_4) | instskip(SKIP_1) | instid1(VALU_DEP_3)
	v_mul_f64 v[2:3], v[2:3], 0.5
	s_waitcnt vmcnt(1)
	v_mul_f64 v[4:5], v[6:7], v[13:14]
	s_delay_alu instid0(VALU_DEP_2) | instskip(SKIP_1) | instid1(VALU_DEP_3)
	v_fma_f64 v[19:20], v[8:9], v[13:14], v[2:3]
	v_fma_f64 v[13:14], v[8:9], v[13:14], -v[2:3]
	v_fma_f64 v[21:22], v[0:1], 0.5, v[4:5]
	v_fma_f64 v[4:5], v[0:1], 0.5, -v[4:5]
	s_delay_alu instid0(VALU_DEP_4) | instskip(NEXT) | instid1(VALU_DEP_4)
	v_fma_f64 v[2:3], -v[11:12], v[6:7], v[19:20]
	v_fma_f64 v[6:7], -v[11:12], v[6:7], v[13:14]
	s_delay_alu instid0(VALU_DEP_4) | instskip(NEXT) | instid1(VALU_DEP_4)
	v_fma_f64 v[0:1], v[8:9], v[11:12], v[21:22]
	v_fma_f64 v[4:5], -v[8:9], v[11:12], v[4:5]
	v_lshlrev_b64 v[8:9], 4, v[110:111]
	v_add_nc_u32_e32 v110, 0x37b, v108
	s_delay_alu instid0(VALU_DEP_2) | instskip(NEXT) | instid1(VALU_DEP_1)
	v_add_co_u32 v8, s0, s1, v8
	v_add_co_ci_u32_e64 v9, s0, s2, v9, s0
	global_load_b128 v[11:14], v[8:9], off
	ds_store_b128 v155, v[0:3]
	ds_store_b128 v10, v[4:7] offset:28512
	ds_load_b128 v[0:3], v153
	ds_load_b128 v[4:7], v10 offset:27216
	s_waitcnt lgkmcnt(0)
	v_add_f64 v[8:9], v[0:1], -v[4:5]
	v_add_f64 v[19:20], v[2:3], v[6:7]
	v_add_f64 v[2:3], v[2:3], -v[6:7]
	v_add_f64 v[0:1], v[0:1], v[4:5]
	s_delay_alu instid0(VALU_DEP_4) | instskip(NEXT) | instid1(VALU_DEP_4)
	v_mul_f64 v[6:7], v[8:9], 0.5
	v_mul_f64 v[8:9], v[19:20], 0.5
	s_delay_alu instid0(VALU_DEP_4) | instskip(SKIP_1) | instid1(VALU_DEP_3)
	v_mul_f64 v[2:3], v[2:3], 0.5
	s_waitcnt vmcnt(1)
	v_mul_f64 v[4:5], v[6:7], v[17:18]
	s_delay_alu instid0(VALU_DEP_2) | instskip(SKIP_1) | instid1(VALU_DEP_3)
	v_fma_f64 v[19:20], v[8:9], v[17:18], v[2:3]
	v_fma_f64 v[17:18], v[8:9], v[17:18], -v[2:3]
	v_fma_f64 v[21:22], v[0:1], 0.5, v[4:5]
	v_fma_f64 v[4:5], v[0:1], 0.5, -v[4:5]
	s_delay_alu instid0(VALU_DEP_4) | instskip(NEXT) | instid1(VALU_DEP_4)
	v_fma_f64 v[2:3], -v[15:16], v[6:7], v[19:20]
	v_fma_f64 v[6:7], -v[15:16], v[6:7], v[17:18]
	s_delay_alu instid0(VALU_DEP_4) | instskip(NEXT) | instid1(VALU_DEP_4)
	v_fma_f64 v[0:1], v[8:9], v[15:16], v[21:22]
	v_fma_f64 v[4:5], -v[8:9], v[15:16], v[4:5]
	v_lshlrev_b64 v[8:9], 4, v[110:111]
	v_add_nc_u32_e32 v110, 0x3cc, v108
	s_delay_alu instid0(VALU_DEP_2) | instskip(NEXT) | instid1(VALU_DEP_1)
	v_add_co_u32 v8, s0, s1, v8
	v_add_co_ci_u32_e64 v9, s0, s2, v9, s0
	global_load_b128 v[15:18], v[8:9], off
	ds_store_b128 v153, v[0:3]
	ds_store_b128 v10, v[4:7] offset:27216
	ds_load_b128 v[0:3], v150 offset:12960
	ds_load_b128 v[4:7], v10 offset:25920
	s_waitcnt lgkmcnt(0)
	v_add_f64 v[8:9], v[0:1], -v[4:5]
	v_add_f64 v[19:20], v[2:3], v[6:7]
	v_add_f64 v[2:3], v[2:3], -v[6:7]
	v_add_f64 v[0:1], v[0:1], v[4:5]
	s_delay_alu instid0(VALU_DEP_4) | instskip(NEXT) | instid1(VALU_DEP_4)
	v_mul_f64 v[6:7], v[8:9], 0.5
	v_mul_f64 v[8:9], v[19:20], 0.5
	s_delay_alu instid0(VALU_DEP_4) | instskip(SKIP_1) | instid1(VALU_DEP_3)
	v_mul_f64 v[2:3], v[2:3], 0.5
	s_waitcnt vmcnt(1)
	v_mul_f64 v[4:5], v[6:7], v[13:14]
	s_delay_alu instid0(VALU_DEP_2) | instskip(SKIP_1) | instid1(VALU_DEP_3)
	v_fma_f64 v[19:20], v[8:9], v[13:14], v[2:3]
	v_fma_f64 v[13:14], v[8:9], v[13:14], -v[2:3]
	v_fma_f64 v[21:22], v[0:1], 0.5, v[4:5]
	v_fma_f64 v[4:5], v[0:1], 0.5, -v[4:5]
	s_delay_alu instid0(VALU_DEP_4) | instskip(NEXT) | instid1(VALU_DEP_4)
	v_fma_f64 v[2:3], -v[11:12], v[6:7], v[19:20]
	v_fma_f64 v[6:7], -v[11:12], v[6:7], v[13:14]
	s_delay_alu instid0(VALU_DEP_4) | instskip(NEXT) | instid1(VALU_DEP_4)
	v_fma_f64 v[0:1], v[8:9], v[11:12], v[21:22]
	v_fma_f64 v[4:5], -v[8:9], v[11:12], v[4:5]
	v_lshlrev_b64 v[8:9], 4, v[110:111]
	v_add_nc_u32_e32 v110, 0x41d, v108
	s_delay_alu instid0(VALU_DEP_2) | instskip(NEXT) | instid1(VALU_DEP_1)
	v_add_co_u32 v8, s0, s1, v8
	v_add_co_ci_u32_e64 v9, s0, s2, v9, s0
	global_load_b128 v[11:14], v[8:9], off
	ds_store_b128 v150, v[0:3] offset:12960
	ds_store_b128 v10, v[4:7] offset:25920
	ds_load_b128 v[0:3], v150 offset:14256
	ds_load_b128 v[4:7], v10 offset:24624
	s_waitcnt lgkmcnt(0)
	v_add_f64 v[8:9], v[0:1], -v[4:5]
	v_add_f64 v[19:20], v[2:3], v[6:7]
	v_add_f64 v[2:3], v[2:3], -v[6:7]
	v_add_f64 v[0:1], v[0:1], v[4:5]
	s_delay_alu instid0(VALU_DEP_4) | instskip(NEXT) | instid1(VALU_DEP_4)
	v_mul_f64 v[6:7], v[8:9], 0.5
	v_mul_f64 v[8:9], v[19:20], 0.5
	s_delay_alu instid0(VALU_DEP_4) | instskip(SKIP_1) | instid1(VALU_DEP_3)
	v_mul_f64 v[2:3], v[2:3], 0.5
	s_waitcnt vmcnt(1)
	v_mul_f64 v[4:5], v[6:7], v[17:18]
	s_delay_alu instid0(VALU_DEP_2) | instskip(SKIP_1) | instid1(VALU_DEP_3)
	v_fma_f64 v[19:20], v[8:9], v[17:18], v[2:3]
	v_fma_f64 v[17:18], v[8:9], v[17:18], -v[2:3]
	v_fma_f64 v[21:22], v[0:1], 0.5, v[4:5]
	v_fma_f64 v[4:5], v[0:1], 0.5, -v[4:5]
	s_delay_alu instid0(VALU_DEP_4) | instskip(NEXT) | instid1(VALU_DEP_4)
	v_fma_f64 v[2:3], -v[15:16], v[6:7], v[19:20]
	v_fma_f64 v[6:7], -v[15:16], v[6:7], v[17:18]
	s_delay_alu instid0(VALU_DEP_4) | instskip(NEXT) | instid1(VALU_DEP_4)
	v_fma_f64 v[0:1], v[8:9], v[15:16], v[21:22]
	v_fma_f64 v[4:5], -v[8:9], v[15:16], v[4:5]
	v_lshlrev_b64 v[8:9], 4, v[110:111]
	v_add_nc_u32_e32 v110, 0x46e, v108
	s_delay_alu instid0(VALU_DEP_2) | instskip(NEXT) | instid1(VALU_DEP_1)
	v_add_co_u32 v8, s0, s1, v8
	v_add_co_ci_u32_e64 v9, s0, s2, v9, s0
	global_load_b128 v[15:18], v[8:9], off
	ds_store_b128 v150, v[0:3] offset:14256
	ds_store_b128 v10, v[4:7] offset:24624
	ds_load_b128 v[0:3], v150 offset:15552
	ds_load_b128 v[4:7], v10 offset:23328
	s_waitcnt lgkmcnt(0)
	v_add_f64 v[8:9], v[0:1], -v[4:5]
	v_add_f64 v[19:20], v[2:3], v[6:7]
	v_add_f64 v[2:3], v[2:3], -v[6:7]
	v_add_f64 v[0:1], v[0:1], v[4:5]
	s_delay_alu instid0(VALU_DEP_4) | instskip(NEXT) | instid1(VALU_DEP_4)
	v_mul_f64 v[6:7], v[8:9], 0.5
	v_mul_f64 v[8:9], v[19:20], 0.5
	s_delay_alu instid0(VALU_DEP_4) | instskip(SKIP_1) | instid1(VALU_DEP_3)
	v_mul_f64 v[2:3], v[2:3], 0.5
	s_waitcnt vmcnt(1)
	v_mul_f64 v[4:5], v[6:7], v[13:14]
	s_delay_alu instid0(VALU_DEP_2) | instskip(SKIP_1) | instid1(VALU_DEP_3)
	v_fma_f64 v[19:20], v[8:9], v[13:14], v[2:3]
	v_fma_f64 v[13:14], v[8:9], v[13:14], -v[2:3]
	v_fma_f64 v[21:22], v[0:1], 0.5, v[4:5]
	v_fma_f64 v[4:5], v[0:1], 0.5, -v[4:5]
	s_delay_alu instid0(VALU_DEP_4) | instskip(NEXT) | instid1(VALU_DEP_4)
	v_fma_f64 v[2:3], -v[11:12], v[6:7], v[19:20]
	v_fma_f64 v[6:7], -v[11:12], v[6:7], v[13:14]
	s_delay_alu instid0(VALU_DEP_4) | instskip(NEXT) | instid1(VALU_DEP_4)
	v_fma_f64 v[0:1], v[8:9], v[11:12], v[21:22]
	v_fma_f64 v[4:5], -v[8:9], v[11:12], v[4:5]
	v_lshlrev_b64 v[8:9], 4, v[110:111]
	s_delay_alu instid0(VALU_DEP_1) | instskip(NEXT) | instid1(VALU_DEP_1)
	v_add_co_u32 v8, s0, s1, v8
	v_add_co_ci_u32_e64 v9, s0, s2, v9, s0
	global_load_b128 v[11:14], v[8:9], off
	ds_store_b128 v150, v[0:3] offset:15552
	ds_store_b128 v10, v[4:7] offset:23328
	ds_load_b128 v[0:3], v150 offset:16848
	ds_load_b128 v[4:7], v10 offset:22032
	s_waitcnt lgkmcnt(0)
	v_add_f64 v[8:9], v[0:1], -v[4:5]
	v_add_f64 v[19:20], v[2:3], v[6:7]
	v_add_f64 v[2:3], v[2:3], -v[6:7]
	v_add_f64 v[0:1], v[0:1], v[4:5]
	s_delay_alu instid0(VALU_DEP_4) | instskip(NEXT) | instid1(VALU_DEP_4)
	v_mul_f64 v[6:7], v[8:9], 0.5
	v_mul_f64 v[8:9], v[19:20], 0.5
	s_delay_alu instid0(VALU_DEP_4) | instskip(SKIP_1) | instid1(VALU_DEP_3)
	v_mul_f64 v[2:3], v[2:3], 0.5
	s_waitcnt vmcnt(1)
	v_mul_f64 v[4:5], v[6:7], v[17:18]
	s_delay_alu instid0(VALU_DEP_2) | instskip(SKIP_1) | instid1(VALU_DEP_3)
	v_fma_f64 v[19:20], v[8:9], v[17:18], v[2:3]
	v_fma_f64 v[17:18], v[8:9], v[17:18], -v[2:3]
	v_fma_f64 v[21:22], v[0:1], 0.5, v[4:5]
	v_fma_f64 v[4:5], v[0:1], 0.5, -v[4:5]
	s_delay_alu instid0(VALU_DEP_4) | instskip(NEXT) | instid1(VALU_DEP_4)
	v_fma_f64 v[2:3], -v[15:16], v[6:7], v[19:20]
	v_fma_f64 v[6:7], -v[15:16], v[6:7], v[17:18]
	s_delay_alu instid0(VALU_DEP_4) | instskip(NEXT) | instid1(VALU_DEP_4)
	v_fma_f64 v[0:1], v[8:9], v[15:16], v[21:22]
	v_fma_f64 v[4:5], -v[8:9], v[15:16], v[4:5]
	ds_store_b128 v150, v[0:3] offset:16848
	ds_store_b128 v10, v[4:7] offset:22032
	ds_load_b128 v[0:3], v150 offset:18144
	ds_load_b128 v[4:7], v10 offset:20736
	s_waitcnt lgkmcnt(0)
	v_add_f64 v[8:9], v[0:1], -v[4:5]
	v_add_f64 v[15:16], v[2:3], v[6:7]
	v_add_f64 v[2:3], v[2:3], -v[6:7]
	v_add_f64 v[0:1], v[0:1], v[4:5]
	s_delay_alu instid0(VALU_DEP_4) | instskip(NEXT) | instid1(VALU_DEP_4)
	v_mul_f64 v[6:7], v[8:9], 0.5
	v_mul_f64 v[8:9], v[15:16], 0.5
	s_delay_alu instid0(VALU_DEP_4) | instskip(SKIP_1) | instid1(VALU_DEP_3)
	v_mul_f64 v[2:3], v[2:3], 0.5
	s_waitcnt vmcnt(0)
	v_mul_f64 v[4:5], v[6:7], v[13:14]
	s_delay_alu instid0(VALU_DEP_2) | instskip(SKIP_1) | instid1(VALU_DEP_3)
	v_fma_f64 v[15:16], v[8:9], v[13:14], v[2:3]
	v_fma_f64 v[13:14], v[8:9], v[13:14], -v[2:3]
	v_fma_f64 v[17:18], v[0:1], 0.5, v[4:5]
	v_fma_f64 v[4:5], v[0:1], 0.5, -v[4:5]
	s_delay_alu instid0(VALU_DEP_4) | instskip(NEXT) | instid1(VALU_DEP_4)
	v_fma_f64 v[2:3], -v[11:12], v[6:7], v[15:16]
	v_fma_f64 v[6:7], -v[11:12], v[6:7], v[13:14]
	s_delay_alu instid0(VALU_DEP_4) | instskip(NEXT) | instid1(VALU_DEP_4)
	v_fma_f64 v[0:1], v[8:9], v[11:12], v[17:18]
	v_fma_f64 v[4:5], -v[8:9], v[11:12], v[4:5]
	ds_store_b128 v150, v[0:3] offset:18144
	ds_store_b128 v10, v[4:7] offset:20736
	s_waitcnt lgkmcnt(0)
	s_barrier
	buffer_gl0_inv
	s_and_saveexec_b32 s0, vcc_lo
	s_cbranch_execz .LBB0_20
; %bb.18:
	ds_load_b128 v[2:5], v150
	ds_load_b128 v[6:9], v150 offset:1296
	ds_load_b128 v[10:13], v150 offset:2592
	;; [unrolled: 1-line block ×5, first 2 shown]
	v_mov_b32_e32 v109, v111
	v_add_co_u32 v0, vcc_lo, s8, v112
	v_add_co_ci_u32_e32 v1, vcc_lo, s9, v113, vcc_lo
	s_delay_alu instid0(VALU_DEP_3) | instskip(NEXT) | instid1(VALU_DEP_1)
	v_lshlrev_b64 v[26:27], 4, v[108:109]
	v_add_co_u32 v50, vcc_lo, v0, v26
	s_delay_alu instid0(VALU_DEP_2) | instskip(NEXT) | instid1(VALU_DEP_2)
	v_add_co_ci_u32_e32 v51, vcc_lo, v1, v27, vcc_lo
	v_add_co_u32 v52, vcc_lo, 0x1000, v50
	s_delay_alu instid0(VALU_DEP_2)
	v_add_co_ci_u32_e32 v53, vcc_lo, 0, v51, vcc_lo
	s_waitcnt lgkmcnt(5)
	global_store_b128 v[50:51], v[2:5], off
	s_waitcnt lgkmcnt(4)
	global_store_b128 v[50:51], v[6:9], off offset:1296
	s_waitcnt lgkmcnt(3)
	global_store_b128 v[50:51], v[10:13], off offset:2592
	;; [unrolled: 2-line block ×5, first 2 shown]
	ds_load_b128 v[2:5], v150 offset:7776
	ds_load_b128 v[6:9], v150 offset:9072
	;; [unrolled: 1-line block ×12, first 2 shown]
	v_add_co_u32 v54, vcc_lo, 0x2000, v50
	v_add_co_ci_u32_e32 v55, vcc_lo, 0, v51, vcc_lo
	v_add_co_u32 v56, vcc_lo, 0x3000, v50
	v_add_co_ci_u32_e32 v57, vcc_lo, 0, v51, vcc_lo
	s_waitcnt lgkmcnt(11)
	global_store_b128 v[52:53], v[2:5], off offset:3680
	s_waitcnt lgkmcnt(10)
	global_store_b128 v[54:55], v[6:9], off offset:880
	s_waitcnt lgkmcnt(9)
	global_store_b128 v[54:55], v[10:13], off offset:2176
	s_waitcnt lgkmcnt(8)
	global_store_b128 v[54:55], v[14:17], off offset:3472
	s_waitcnt lgkmcnt(7)
	global_store_b128 v[56:57], v[18:21], off offset:672
	s_waitcnt lgkmcnt(6)
	global_store_b128 v[56:57], v[22:25], off offset:1968
	v_add_co_u32 v2, vcc_lo, 0x4000, v50
	v_add_co_ci_u32_e32 v3, vcc_lo, 0, v51, vcc_lo
	v_add_co_u32 v52, vcc_lo, 0x5000, v50
	v_add_co_ci_u32_e32 v53, vcc_lo, 0, v51, vcc_lo
	s_waitcnt lgkmcnt(5)
	global_store_b128 v[56:57], v[26:29], off offset:3264
	s_waitcnt lgkmcnt(4)
	global_store_b128 v[2:3], v[30:33], off offset:464
	;; [unrolled: 2-line block ×6, first 2 shown]
	ds_load_b128 v[2:5], v150 offset:23328
	ds_load_b128 v[6:9], v150 offset:24624
	ds_load_b128 v[10:13], v150 offset:25920
	ds_load_b128 v[14:17], v150 offset:27216
	ds_load_b128 v[18:21], v150 offset:28512
	ds_load_b128 v[22:25], v150 offset:29808
	ds_load_b128 v[26:29], v150 offset:31104
	ds_load_b128 v[30:33], v150 offset:32400
	ds_load_b128 v[34:37], v150 offset:33696
	ds_load_b128 v[38:41], v150 offset:34992
	ds_load_b128 v[42:45], v150 offset:36288
	ds_load_b128 v[46:49], v150 offset:37584
	v_add_co_u32 v54, vcc_lo, 0x6000, v50
	v_add_co_ci_u32_e32 v55, vcc_lo, 0, v51, vcc_lo
	v_add_co_u32 v56, vcc_lo, 0x7000, v50
	v_add_co_ci_u32_e32 v57, vcc_lo, 0, v51, vcc_lo
	s_waitcnt lgkmcnt(11)
	global_store_b128 v[52:53], v[2:5], off offset:2848
	s_waitcnt lgkmcnt(10)
	global_store_b128 v[54:55], v[6:9], off offset:48
	;; [unrolled: 2-line block ×8, first 2 shown]
	v_add_co_u32 v2, vcc_lo, 0x8000, v50
	v_add_co_ci_u32_e32 v3, vcc_lo, 0, v51, vcc_lo
	v_add_co_u32 v4, vcc_lo, 0x9000, v50
	v_add_co_ci_u32_e32 v5, vcc_lo, 0, v51, vcc_lo
	v_cmp_eq_u32_e32 vcc_lo, 0x50, v108
	s_waitcnt lgkmcnt(3)
	global_store_b128 v[2:3], v[34:37], off offset:928
	s_waitcnt lgkmcnt(2)
	global_store_b128 v[2:3], v[38:41], off offset:2224
	;; [unrolled: 2-line block ×4, first 2 shown]
	s_and_b32 exec_lo, exec_lo, vcc_lo
	s_cbranch_execz .LBB0_20
; %bb.19:
	v_mov_b32_e32 v2, 0
	v_add_co_u32 v0, vcc_lo, 0x9000, v0
	v_add_co_ci_u32_e32 v1, vcc_lo, 0, v1, vcc_lo
	ds_load_b128 v[2:5], v2 offset:38880
	s_waitcnt lgkmcnt(0)
	global_store_b128 v[0:1], v[2:5], off offset:2016
.LBB0_20:
	s_nop 0
	s_sendmsg sendmsg(MSG_DEALLOC_VGPRS)
	s_endpgm
	.section	.rodata,"a",@progbits
	.p2align	6, 0x0
	.amdhsa_kernel fft_rtc_fwd_len2430_factors_10_3_3_3_3_3_wgs_81_tpt_81_halfLds_dp_ip_CI_unitstride_sbrr_R2C_dirReg
		.amdhsa_group_segment_fixed_size 0
		.amdhsa_private_segment_fixed_size 0
		.amdhsa_kernarg_size 88
		.amdhsa_user_sgpr_count 15
		.amdhsa_user_sgpr_dispatch_ptr 0
		.amdhsa_user_sgpr_queue_ptr 0
		.amdhsa_user_sgpr_kernarg_segment_ptr 1
		.amdhsa_user_sgpr_dispatch_id 0
		.amdhsa_user_sgpr_private_segment_size 0
		.amdhsa_wavefront_size32 1
		.amdhsa_uses_dynamic_stack 0
		.amdhsa_enable_private_segment 0
		.amdhsa_system_sgpr_workgroup_id_x 1
		.amdhsa_system_sgpr_workgroup_id_y 0
		.amdhsa_system_sgpr_workgroup_id_z 0
		.amdhsa_system_sgpr_workgroup_info 0
		.amdhsa_system_vgpr_workitem_id 0
		.amdhsa_next_free_vgpr 237
		.amdhsa_next_free_sgpr 21
		.amdhsa_reserve_vcc 1
		.amdhsa_float_round_mode_32 0
		.amdhsa_float_round_mode_16_64 0
		.amdhsa_float_denorm_mode_32 3
		.amdhsa_float_denorm_mode_16_64 3
		.amdhsa_dx10_clamp 1
		.amdhsa_ieee_mode 1
		.amdhsa_fp16_overflow 0
		.amdhsa_workgroup_processor_mode 1
		.amdhsa_memory_ordered 1
		.amdhsa_forward_progress 0
		.amdhsa_shared_vgpr_count 0
		.amdhsa_exception_fp_ieee_invalid_op 0
		.amdhsa_exception_fp_denorm_src 0
		.amdhsa_exception_fp_ieee_div_zero 0
		.amdhsa_exception_fp_ieee_overflow 0
		.amdhsa_exception_fp_ieee_underflow 0
		.amdhsa_exception_fp_ieee_inexact 0
		.amdhsa_exception_int_div_zero 0
	.end_amdhsa_kernel
	.text
.Lfunc_end0:
	.size	fft_rtc_fwd_len2430_factors_10_3_3_3_3_3_wgs_81_tpt_81_halfLds_dp_ip_CI_unitstride_sbrr_R2C_dirReg, .Lfunc_end0-fft_rtc_fwd_len2430_factors_10_3_3_3_3_3_wgs_81_tpt_81_halfLds_dp_ip_CI_unitstride_sbrr_R2C_dirReg
                                        ; -- End function
	.section	.AMDGPU.csdata,"",@progbits
; Kernel info:
; codeLenInByte = 27604
; NumSgprs: 23
; NumVgprs: 237
; ScratchSize: 0
; MemoryBound: 0
; FloatMode: 240
; IeeeMode: 1
; LDSByteSize: 0 bytes/workgroup (compile time only)
; SGPRBlocks: 2
; VGPRBlocks: 29
; NumSGPRsForWavesPerEU: 23
; NumVGPRsForWavesPerEU: 237
; Occupancy: 6
; WaveLimiterHint : 1
; COMPUTE_PGM_RSRC2:SCRATCH_EN: 0
; COMPUTE_PGM_RSRC2:USER_SGPR: 15
; COMPUTE_PGM_RSRC2:TRAP_HANDLER: 0
; COMPUTE_PGM_RSRC2:TGID_X_EN: 1
; COMPUTE_PGM_RSRC2:TGID_Y_EN: 0
; COMPUTE_PGM_RSRC2:TGID_Z_EN: 0
; COMPUTE_PGM_RSRC2:TIDIG_COMP_CNT: 0
	.text
	.p2alignl 7, 3214868480
	.fill 96, 4, 3214868480
	.type	__hip_cuid_df0b3329f3b7f623,@object ; @__hip_cuid_df0b3329f3b7f623
	.section	.bss,"aw",@nobits
	.globl	__hip_cuid_df0b3329f3b7f623
__hip_cuid_df0b3329f3b7f623:
	.byte	0                               ; 0x0
	.size	__hip_cuid_df0b3329f3b7f623, 1

	.ident	"AMD clang version 19.0.0git (https://github.com/RadeonOpenCompute/llvm-project roc-6.4.0 25133 c7fe45cf4b819c5991fe208aaa96edf142730f1d)"
	.section	".note.GNU-stack","",@progbits
	.addrsig
	.addrsig_sym __hip_cuid_df0b3329f3b7f623
	.amdgpu_metadata
---
amdhsa.kernels:
  - .args:
      - .actual_access:  read_only
        .address_space:  global
        .offset:         0
        .size:           8
        .value_kind:     global_buffer
      - .offset:         8
        .size:           8
        .value_kind:     by_value
      - .actual_access:  read_only
        .address_space:  global
        .offset:         16
        .size:           8
        .value_kind:     global_buffer
      - .actual_access:  read_only
        .address_space:  global
        .offset:         24
        .size:           8
        .value_kind:     global_buffer
      - .offset:         32
        .size:           8
        .value_kind:     by_value
      - .actual_access:  read_only
        .address_space:  global
        .offset:         40
        .size:           8
        .value_kind:     global_buffer
      - .actual_access:  read_only
        .address_space:  global
        .offset:         48
        .size:           8
        .value_kind:     global_buffer
      - .offset:         56
        .size:           4
        .value_kind:     by_value
      - .actual_access:  read_only
        .address_space:  global
        .offset:         64
        .size:           8
        .value_kind:     global_buffer
      - .actual_access:  read_only
        .address_space:  global
        .offset:         72
        .size:           8
        .value_kind:     global_buffer
      - .address_space:  global
        .offset:         80
        .size:           8
        .value_kind:     global_buffer
    .group_segment_fixed_size: 0
    .kernarg_segment_align: 8
    .kernarg_segment_size: 88
    .language:       OpenCL C
    .language_version:
      - 2
      - 0
    .max_flat_workgroup_size: 81
    .name:           fft_rtc_fwd_len2430_factors_10_3_3_3_3_3_wgs_81_tpt_81_halfLds_dp_ip_CI_unitstride_sbrr_R2C_dirReg
    .private_segment_fixed_size: 0
    .sgpr_count:     23
    .sgpr_spill_count: 0
    .symbol:         fft_rtc_fwd_len2430_factors_10_3_3_3_3_3_wgs_81_tpt_81_halfLds_dp_ip_CI_unitstride_sbrr_R2C_dirReg.kd
    .uniform_work_group_size: 1
    .uses_dynamic_stack: false
    .vgpr_count:     237
    .vgpr_spill_count: 0
    .wavefront_size: 32
    .workgroup_processor_mode: 1
amdhsa.target:   amdgcn-amd-amdhsa--gfx1100
amdhsa.version:
  - 1
  - 2
...

	.end_amdgpu_metadata
